;; amdgpu-corpus repo=ROCm/rocFFT kind=compiled arch=gfx950 opt=O3
	.text
	.amdgcn_target "amdgcn-amd-amdhsa--gfx950"
	.amdhsa_code_object_version 6
	.protected	bluestein_single_back_len578_dim1_dp_op_CI_CI ; -- Begin function bluestein_single_back_len578_dim1_dp_op_CI_CI
	.globl	bluestein_single_back_len578_dim1_dp_op_CI_CI
	.p2align	8
	.type	bluestein_single_back_len578_dim1_dp_op_CI_CI,@function
bluestein_single_back_len578_dim1_dp_op_CI_CI: ; @bluestein_single_back_len578_dim1_dp_op_CI_CI
; %bb.0:
	s_load_dwordx4 s[16:19], s[0:1], 0x28
	v_mul_u32_u24_e32 v1, 0x788, v0
	v_lshrrev_b32_e32 v2, 16, v1
	v_mad_u64_u32 v[234:235], s[2:3], s2, 7, v[2:3]
	v_mov_b32_e32 v233, 0
	v_mov_b32_e32 v235, v233
	s_waitcnt lgkmcnt(0)
	v_cmp_gt_u64_e32 vcc, s[16:17], v[234:235]
	s_and_saveexec_b64 s[2:3], vcc
	s_cbranch_execz .LBB0_10
; %bb.1:
	s_load_dwordx4 s[4:7], s[0:1], 0x18
	s_load_dwordx4 s[8:11], s[0:1], 0x0
	v_mul_lo_u16_e32 v1, 34, v2
	v_sub_u16_e32 v232, v0, v1
	v_mov_b32_e32 v4, s18
	s_waitcnt lgkmcnt(0)
	s_load_dwordx4 s[12:15], s[4:5], 0x0
	v_mov_b32_e32 v5, s19
	v_lshlrev_b32_e32 v72, 4, v232
	v_mov_b32_e32 v73, v233
	s_movk_i32 s33, 0x1000
	s_waitcnt lgkmcnt(0)
	v_mad_u64_u32 v[0:1], s[2:3], s14, v234, 0
	v_mov_b32_e32 v2, v1
	v_mad_u64_u32 v[2:3], s[2:3], s15, v234, v[2:3]
	v_mov_b32_e32 v1, v2
	;; [unrolled: 2-line block ×4, first 2 shown]
	v_lshl_add_u64 v[0:1], v[0:1], 4, v[4:5]
	s_mov_b32 s2, 0x24924925
	v_lshl_add_u64 v[16:17], v[2:3], 4, v[0:1]
	v_mul_hi_u32 v0, v234, s2
	v_sub_u32_e32 v1, v234, v0
	v_lshrrev_b32_e32 v1, 1, v1
	v_add_u32_e32 v0, v1, v0
	v_lshrrev_b32_e32 v0, 2, v0
	v_mul_lo_u32 v2, v0, 7
	v_mov_b32_e32 v4, 0x220
	v_lshl_add_u64 v[28:29], s[8:9], 0, v[72:73]
	v_sub_u32_e32 v2, v234, v2
	v_add_co_u32_e32 v0, vcc, s33, v28
	v_mul_u32_u24_e32 v5, 0x242, v2
	s_mul_i32 s2, s13, 0x220
	v_mad_u64_u32 v[2:3], s[14:15], s12, v4, v[16:17]
	v_addc_co_u32_e32 v1, vcc, 0, v29, vcc
	v_add_u32_e32 v3, s2, v3
	global_load_dwordx4 v[68:71], v[16:17], off
	global_load_dwordx4 v[6:9], v72, s[8:9]
	s_load_dwordx4 s[4:7], s[6:7], 0x0
	global_load_dwordx4 v[64:67], v72, s[8:9] offset:544
	global_load_dwordx4 v[60:63], v72, s[8:9] offset:1088
	;; [unrolled: 1-line block ×7, first 2 shown]
	global_load_dwordx4 v[10:13], v[0:1], off offset:256
	global_load_dwordx4 v[18:21], v[0:1], off offset:800
	global_load_dwordx4 v[74:77], v[2:3], off
	v_mad_u64_u32 v[2:3], s[14:15], s12, v4, v[2:3]
	v_add_u32_e32 v3, s2, v3
	global_load_dwordx4 v[78:81], v[2:3], off
	v_mad_u64_u32 v[2:3], s[14:15], s12, v4, v[2:3]
	v_add_u32_e32 v3, s2, v3
	;; [unrolled: 3-line block ×10, first 2 shown]
	global_load_dwordx4 v[118:121], v[2:3], off
	global_load_dwordx4 v[50:53], v[0:1], off offset:1344
	global_load_dwordx4 v[34:37], v[0:1], off offset:1888
	v_mad_u64_u32 v[2:3], s[14:15], s12, v4, v[2:3]
	v_add_u32_e32 v3, s2, v3
	global_load_dwordx4 v[122:125], v[2:3], off
	v_mad_u64_u32 v[2:3], s[14:15], s12, v4, v[2:3]
	v_add_u32_e32 v3, s2, v3
	global_load_dwordx4 v[126:129], v[2:3], off
	global_load_dwordx4 v[46:49], v[0:1], off offset:2432
	global_load_dwordx4 v[30:33], v[0:1], off offset:2976
	v_mad_u64_u32 v[2:3], s[14:15], s12, v4, v[2:3]
	v_add_u32_e32 v3, s2, v3
	global_load_dwordx4 v[130:133], v[2:3], off
	v_mad_u64_u32 v[2:3], s[14:15], s12, v4, v[2:3]
	v_add_u32_e32 v3, s2, v3
	global_load_dwordx4 v[134:137], v[2:3], off
	global_load_dwordx4 v[42:45], v[0:1], off offset:3520
	global_load_dwordx4 v[14:17], v[0:1], off offset:4064
	v_mad_u64_u32 v[0:1], s[12:13], s12, v4, v[2:3]
	v_add_u32_e32 v1, s2, v1
	s_movk_i32 s2, 0x2000
	global_load_dwordx4 v[138:141], v[0:1], off
	v_add_co_u32_e32 v0, vcc, s2, v28
	v_lshlrev_b32_e32 v250, 4, v5
	s_nop 0
	v_addc_co_u32_e32 v1, vcc, 0, v29, vcc
	global_load_dwordx4 v[2:5], v[0:1], off offset:512
	v_add_u32_e32 v235, v72, v250
	s_mov_b32 s28, 0x5d8e7cdc
	s_mov_b32 s44, 0x2a9d6da3
	;; [unrolled: 1-line block ×7, first 2 shown]
	s_waitcnt vmcnt(32)
	v_mul_f64 v[114:115], v[70:71], v[8:9]
	v_mul_f64 v[0:1], v[68:69], v[8:9]
	v_fmac_f64_e32 v[114:115], v[68:69], v[6:7]
	v_fma_f64 v[116:117], v[70:71], v[6:7], -v[0:1]
	s_waitcnt vmcnt(22)
	v_mul_f64 v[68:69], v[76:77], v[66:67]
	v_mul_f64 v[0:1], v[74:75], v[66:67]
	v_fmac_f64_e32 v[68:69], v[74:75], v[64:65]
	v_fma_f64 v[70:71], v[76:77], v[64:65], -v[0:1]
	ds_write_b128 v235, v[68:71] offset:544
	s_waitcnt vmcnt(21)
	v_mul_f64 v[68:69], v[80:81], v[62:63]
	v_mul_f64 v[0:1], v[78:79], v[62:63]
	v_fmac_f64_e32 v[68:69], v[78:79], v[60:61]
	v_fma_f64 v[70:71], v[80:81], v[60:61], -v[0:1]
	ds_write_b128 v235, v[68:71] offset:1088
	;; [unrolled: 6-line block ×15, first 2 shown]
	s_waitcnt vmcnt(0)
	v_mul_f64 v[68:69], v[140:141], v[4:5]
	v_mul_f64 v[0:1], v[138:139], v[4:5]
	v_fmac_f64_e32 v[68:69], v[138:139], v[2:3]
	v_accvgpr_write_b32 a31, v5
	v_fma_f64 v[70:71], v[140:141], v[2:3], -v[0:1]
	ds_write_b128 v235, v[114:117]
	v_accvgpr_write_b32 a30, v4
	v_accvgpr_write_b32 a29, v3
	;; [unrolled: 1-line block ×3, first 2 shown]
	ds_write_b128 v235, v[68:71] offset:8704
	s_waitcnt lgkmcnt(0)
	s_barrier
	ds_read_b128 v[116:119], v235
	ds_read_b128 v[128:131], v235 offset:544
	ds_read_b128 v[120:123], v235 offset:1088
	;; [unrolled: 1-line block ×16, first 2 shown]
	s_waitcnt lgkmcnt(14)
	v_add_f64 v[0:1], v[116:117], v[128:129]
	v_add_f64 v[2:3], v[118:119], v[130:131]
	;; [unrolled: 1-line block ×4, first 2 shown]
	s_waitcnt lgkmcnt(13)
	v_add_f64 v[0:1], v[0:1], v[112:113]
	v_add_f64 v[2:3], v[2:3], v[114:115]
	s_waitcnt lgkmcnt(12)
	v_add_f64 v[0:1], v[0:1], v[104:105]
	v_add_f64 v[2:3], v[2:3], v[106:107]
	;; [unrolled: 3-line block ×12, first 2 shown]
	s_mov_b32 s40, 0xacd6c6b4
	v_accvgpr_write_b32 a0, v6
	v_accvgpr_write_b32 a48, v142
	;; [unrolled: 1-line block ×4, first 2 shown]
	s_waitcnt lgkmcnt(1)
	v_add_f64 v[0:1], v[0:1], v[132:133]
	v_add_f64 v[2:3], v[2:3], v[134:135]
	s_waitcnt lgkmcnt(0)
	v_add_f64 v[4:5], v[128:129], -v[136:137]
	s_mov_b32 s29, 0xbfd71e95
	s_mov_b32 s22, 0x370991
	;; [unrolled: 1-line block ×16, first 2 shown]
	v_accvgpr_write_b32 a1, v7
	v_accvgpr_write_b32 a2, v8
	;; [unrolled: 1-line block ×16, first 2 shown]
	v_add_f64 v[68:69], v[0:1], v[136:137]
	v_add_f64 v[70:71], v[2:3], v[138:139]
	;; [unrolled: 1-line block ×4, first 2 shown]
	v_add_f64 v[6:7], v[130:131], -v[138:139]
	s_mov_b32 s23, 0x3fedd6d0
	v_mul_f64 v[12:13], v[4:5], s[28:29]
	s_mov_b32 s17, 0x3fe7a5f6
	v_mul_f64 v[20:21], v[4:5], s[44:45]
	s_mov_b32 s15, 0x3fdc86fa
	v_mul_f64 v[28:29], v[4:5], s[50:51]
	s_mov_b32 s13, 0x3fb79ee6
	v_mul_f64 v[136:137], v[4:5], s[36:37]
	s_mov_b32 s19, 0xbfd183b1
	v_mul_f64 v[144:145], v[4:5], s[20:21]
	s_mov_b32 s25, 0xbfe348c8
	v_mul_f64 v[152:153], v[4:5], s[26:27]
	s_mov_b32 s31, 0xbfeb34fa
	v_mul_f64 v[160:161], v[4:5], s[34:35]
	s_mov_b32 s39, 0xbfef7484
	v_mul_f64 v[4:5], v[4:5], s[40:41]
	v_accvgpr_write_b32 a53, v147
	v_accvgpr_write_b32 a54, v148
	;; [unrolled: 1-line block ×12, first 2 shown]
	v_mul_f64 v[8:9], v[6:7], s[28:29]
	v_fma_f64 v[14:15], s[22:23], v[2:3], v[12:13]
	v_fma_f64 v[12:13], v[2:3], s[22:23], -v[12:13]
	v_mul_f64 v[16:17], v[6:7], s[44:45]
	v_fma_f64 v[22:23], s[16:17], v[2:3], v[20:21]
	v_fma_f64 v[20:21], v[2:3], s[16:17], -v[20:21]
	;; [unrolled: 3-line block ×8, first 2 shown]
	v_fma_f64 v[10:11], v[0:1], s[22:23], -v[8:9]
	v_add_f64 v[14:15], v[118:119], v[14:15]
	v_fmac_f64_e32 v[8:9], s[22:23], v[0:1]
	v_add_f64 v[12:13], v[118:119], v[12:13]
	v_fma_f64 v[18:19], v[0:1], s[16:17], -v[16:17]
	v_add_f64 v[22:23], v[118:119], v[22:23]
	v_fmac_f64_e32 v[16:17], s[16:17], v[0:1]
	v_add_f64 v[20:21], v[118:119], v[20:21]
	;; [unrolled: 4-line block ×8, first 2 shown]
	v_add_f64 v[118:119], v[122:123], -v[134:135]
	v_add_f64 v[10:11], v[116:117], v[10:11]
	v_add_f64 v[8:9], v[116:117], v[8:9]
	v_add_f64 v[18:19], v[116:117], v[18:19]
	v_add_f64 v[16:17], v[116:117], v[16:17]
	v_add_f64 v[26:27], v[116:117], v[26:27]
	v_add_f64 v[24:25], v[116:117], v[24:25]
	v_add_f64 v[130:131], v[116:117], v[130:131]
	v_add_f64 v[128:129], v[116:117], v[128:129]
	v_add_f64 v[142:143], v[116:117], v[142:143]
	v_add_f64 v[140:141], v[116:117], v[140:141]
	v_add_f64 v[150:151], v[116:117], v[150:151]
	v_add_f64 v[148:149], v[116:117], v[148:149]
	v_add_f64 v[158:159], v[116:117], v[158:159]
	v_add_f64 v[156:157], v[116:117], v[156:157]
	v_add_f64 v[164:165], v[116:117], v[164:165]
	v_add_f64 v[0:1], v[116:117], v[6:7]
	v_add_f64 v[4:5], v[120:121], v[132:133]
	v_add_f64 v[116:117], v[120:121], -v[132:133]
	v_mul_f64 v[120:121], v[118:119], s[44:45]
	v_add_f64 v[6:7], v[122:123], v[134:135]
	v_fma_f64 v[122:123], v[4:5], s[16:17], -v[120:121]
	v_add_f64 v[10:11], v[122:123], v[10:11]
	v_mul_f64 v[122:123], v[116:117], s[44:45]
	v_fmac_f64_e32 v[120:121], s[16:17], v[4:5]
	v_add_f64 v[8:9], v[120:121], v[8:9]
	v_fma_f64 v[120:121], v[6:7], s[16:17], -v[122:123]
	v_add_f64 v[12:13], v[120:121], v[12:13]
	v_mul_f64 v[120:121], v[118:119], s[36:37]
	v_fma_f64 v[132:133], s[16:17], v[6:7], v[122:123]
	v_fma_f64 v[122:123], v[4:5], s[12:13], -v[120:121]
	v_add_f64 v[18:19], v[122:123], v[18:19]
	v_mul_f64 v[122:123], v[116:117], s[36:37]
	v_fmac_f64_e32 v[120:121], s[12:13], v[4:5]
	v_add_f64 v[16:17], v[120:121], v[16:17]
	v_fma_f64 v[120:121], v[6:7], s[12:13], -v[122:123]
	v_add_f64 v[20:21], v[120:121], v[20:21]
	v_mul_f64 v[120:121], v[118:119], s[26:27]
	v_add_f64 v[14:15], v[132:133], v[14:15]
	v_fma_f64 v[132:133], s[12:13], v[6:7], v[122:123]
	v_fma_f64 v[122:123], v[4:5], s[24:25], -v[120:121]
	v_add_f64 v[26:27], v[122:123], v[26:27]
	v_mul_f64 v[122:123], v[116:117], s[26:27]
	v_fmac_f64_e32 v[120:121], s[24:25], v[4:5]
	v_add_f64 v[24:25], v[120:121], v[24:25]
	v_fma_f64 v[120:121], v[6:7], s[24:25], -v[122:123]
	v_add_f64 v[28:29], v[120:121], v[28:29]
	v_mul_f64 v[120:121], v[118:119], s[40:41]
	v_add_f64 v[22:23], v[132:133], v[22:23]
	v_fma_f64 v[132:133], s[24:25], v[6:7], v[122:123]
	v_fma_f64 v[122:123], v[4:5], s[38:39], -v[120:121]
	v_add_f64 v[122:123], v[122:123], v[130:131]
	v_mul_f64 v[130:131], v[116:117], s[40:41]
	v_fmac_f64_e32 v[120:121], s[38:39], v[4:5]
	s_mov_b32 s57, 0x3fe0d888
	s_mov_b32 s56, s34
	v_add_f64 v[30:31], v[132:133], v[30:31]
	v_fma_f64 v[132:133], s[38:39], v[6:7], v[130:131]
	v_add_f64 v[120:121], v[120:121], v[128:129]
	v_fma_f64 v[128:129], v[6:7], s[38:39], -v[130:131]
	v_mul_f64 v[130:131], v[118:119], s[56:57]
	v_add_f64 v[128:129], v[128:129], v[136:137]
	v_fma_f64 v[134:135], v[4:5], s[30:31], -v[130:131]
	v_mul_f64 v[136:137], v[116:117], s[56:57]
	v_fmac_f64_e32 v[130:131], s[30:31], v[4:5]
	s_mov_b32 s55, 0x3feec746
	s_mov_b32 s54, s20
	v_add_f64 v[132:133], v[132:133], v[138:139]
	v_fma_f64 v[138:139], s[30:31], v[6:7], v[136:137]
	v_add_f64 v[130:131], v[130:131], v[140:141]
	v_fma_f64 v[136:137], v[6:7], s[30:31], -v[136:137]
	v_mul_f64 v[140:141], v[118:119], s[54:55]
	v_add_f64 v[134:135], v[134:135], v[142:143]
	v_add_f64 v[136:137], v[136:137], v[144:145]
	v_fma_f64 v[142:143], v[4:5], s[18:19], -v[140:141]
	v_mul_f64 v[144:145], v[116:117], s[54:55]
	v_fmac_f64_e32 v[140:141], s[18:19], v[4:5]
	s_mov_b32 s43, 0x3feca52d
	s_mov_b32 s42, s50
	v_add_f64 v[138:139], v[138:139], v[146:147]
	v_fma_f64 v[146:147], s[18:19], v[6:7], v[144:145]
	v_add_f64 v[140:141], v[140:141], v[148:149]
	v_fma_f64 v[144:145], v[6:7], s[18:19], -v[144:145]
	v_mul_f64 v[148:149], v[118:119], s[42:43]
	s_mov_b32 s47, 0x3fd71e95
	s_mov_b32 s46, s28
	v_add_f64 v[142:143], v[142:143], v[150:151]
	v_add_f64 v[144:145], v[144:145], v[152:153]
	v_fma_f64 v[150:151], v[4:5], s[14:15], -v[148:149]
	v_mul_f64 v[152:153], v[116:117], s[42:43]
	v_fmac_f64_e32 v[148:149], s[14:15], v[4:5]
	v_mul_f64 v[118:119], v[118:119], s[46:47]
	v_mul_f64 v[116:117], v[116:117], s[46:47]
	v_add_f64 v[146:147], v[146:147], v[154:155]
	v_add_f64 v[150:151], v[150:151], v[158:159]
	v_fma_f64 v[154:155], s[14:15], v[6:7], v[152:153]
	v_add_f64 v[148:149], v[148:149], v[156:157]
	v_fma_f64 v[152:153], v[6:7], s[14:15], -v[152:153]
	v_fma_f64 v[156:157], v[4:5], s[22:23], -v[118:119]
	v_fma_f64 v[158:159], s[22:23], v[6:7], v[116:117]
	v_fmac_f64_e32 v[118:119], s[22:23], v[4:5]
	v_fma_f64 v[4:5], v[6:7], s[22:23], -v[116:117]
	v_add_f64 v[6:7], v[114:115], v[126:127]
	v_add_f64 v[114:115], v[114:115], -v[126:127]
	v_add_f64 v[2:3], v[4:5], v[2:3]
	v_add_f64 v[4:5], v[112:113], v[124:125]
	v_mul_f64 v[116:117], v[114:115], s[50:51]
	v_add_f64 v[0:1], v[118:119], v[0:1]
	v_add_f64 v[112:113], v[112:113], -v[124:125]
	v_fma_f64 v[118:119], v[4:5], s[14:15], -v[116:117]
	v_add_f64 v[10:11], v[118:119], v[10:11]
	v_mul_f64 v[118:119], v[112:113], s[50:51]
	v_fmac_f64_e32 v[116:117], s[14:15], v[4:5]
	v_add_f64 v[8:9], v[116:117], v[8:9]
	v_fma_f64 v[116:117], v[6:7], s[14:15], -v[118:119]
	v_add_f64 v[12:13], v[116:117], v[12:13]
	v_mul_f64 v[116:117], v[114:115], s[26:27]
	v_fma_f64 v[124:125], s[14:15], v[6:7], v[118:119]
	v_fma_f64 v[118:119], v[4:5], s[24:25], -v[116:117]
	v_add_f64 v[18:19], v[118:119], v[18:19]
	v_mul_f64 v[118:119], v[112:113], s[26:27]
	v_fmac_f64_e32 v[116:117], s[24:25], v[4:5]
	v_add_f64 v[16:17], v[116:117], v[16:17]
	v_fma_f64 v[116:117], v[6:7], s[24:25], -v[118:119]
	s_mov_b32 s3, 0x3fc7851a
	s_mov_b32 s2, s40
	v_add_f64 v[20:21], v[116:117], v[20:21]
	v_mul_f64 v[116:117], v[114:115], s[2:3]
	v_add_f64 v[14:15], v[124:125], v[14:15]
	v_fma_f64 v[124:125], s[24:25], v[6:7], v[118:119]
	v_fma_f64 v[118:119], v[4:5], s[38:39], -v[116:117]
	v_add_f64 v[26:27], v[118:119], v[26:27]
	v_mul_f64 v[118:119], v[112:113], s[2:3]
	v_fmac_f64_e32 v[116:117], s[38:39], v[4:5]
	v_add_f64 v[24:25], v[116:117], v[24:25]
	v_fma_f64 v[116:117], v[6:7], s[38:39], -v[118:119]
	v_add_f64 v[28:29], v[116:117], v[28:29]
	v_mul_f64 v[116:117], v[114:115], s[54:55]
	v_add_f64 v[22:23], v[124:125], v[22:23]
	v_fma_f64 v[124:125], s[38:39], v[6:7], v[118:119]
	v_fma_f64 v[118:119], v[4:5], s[18:19], -v[116:117]
	v_add_f64 v[118:119], v[118:119], v[122:123]
	v_mul_f64 v[122:123], v[112:113], s[54:55]
	v_fmac_f64_e32 v[116:117], s[18:19], v[4:5]
	s_mov_b32 s49, 0x3fe58eea
	s_mov_b32 s48, s44
	v_add_f64 v[30:31], v[124:125], v[30:31]
	v_fma_f64 v[124:125], s[18:19], v[6:7], v[122:123]
	v_add_f64 v[116:117], v[116:117], v[120:121]
	v_fma_f64 v[120:121], v[6:7], s[18:19], -v[122:123]
	v_mul_f64 v[122:123], v[114:115], s[48:49]
	v_add_f64 v[120:121], v[120:121], v[128:129]
	v_fma_f64 v[126:127], v[4:5], s[16:17], -v[122:123]
	v_mul_f64 v[128:129], v[112:113], s[48:49]
	v_fmac_f64_e32 v[122:123], s[16:17], v[4:5]
	v_add_f64 v[124:125], v[124:125], v[132:133]
	v_fma_f64 v[132:133], s[16:17], v[6:7], v[128:129]
	v_add_f64 v[122:123], v[122:123], v[130:131]
	v_fma_f64 v[128:129], v[6:7], s[16:17], -v[128:129]
	v_mul_f64 v[130:131], v[114:115], s[28:29]
	v_add_f64 v[126:127], v[126:127], v[134:135]
	v_add_f64 v[128:129], v[128:129], v[136:137]
	v_fma_f64 v[134:135], v[4:5], s[22:23], -v[130:131]
	v_mul_f64 v[136:137], v[112:113], s[28:29]
	v_fmac_f64_e32 v[130:131], s[22:23], v[4:5]
	v_add_f64 v[132:133], v[132:133], v[138:139]
	v_fma_f64 v[138:139], s[22:23], v[6:7], v[136:137]
	v_add_f64 v[130:131], v[130:131], v[140:141]
	v_fma_f64 v[136:137], v[6:7], s[22:23], -v[136:137]
	v_mul_f64 v[140:141], v[114:115], s[36:37]
	v_add_f64 v[134:135], v[134:135], v[142:143]
	v_add_f64 v[136:137], v[136:137], v[144:145]
	v_fma_f64 v[142:143], v[4:5], s[12:13], -v[140:141]
	v_mul_f64 v[144:145], v[112:113], s[36:37]
	v_fmac_f64_e32 v[140:141], s[12:13], v[4:5]
	v_mul_f64 v[114:115], v[114:115], s[34:35]
	v_mul_f64 v[112:113], v[112:113], s[34:35]
	v_add_f64 v[138:139], v[138:139], v[146:147]
	v_add_f64 v[142:143], v[142:143], v[150:151]
	v_fma_f64 v[146:147], s[12:13], v[6:7], v[144:145]
	v_add_f64 v[140:141], v[140:141], v[148:149]
	v_fma_f64 v[144:145], v[6:7], s[12:13], -v[144:145]
	v_fma_f64 v[148:149], v[4:5], s[30:31], -v[114:115]
	v_fma_f64 v[150:151], s[30:31], v[6:7], v[112:113]
	v_fmac_f64_e32 v[114:115], s[30:31], v[4:5]
	v_fma_f64 v[4:5], v[6:7], s[30:31], -v[112:113]
	v_add_f64 v[6:7], v[106:107], v[110:111]
	v_add_f64 v[106:107], v[106:107], -v[110:111]
	v_add_f64 v[2:3], v[4:5], v[2:3]
	v_add_f64 v[4:5], v[104:105], v[108:109]
	v_add_f64 v[104:105], v[104:105], -v[108:109]
	v_mul_f64 v[108:109], v[106:107], s[36:37]
	v_fma_f64 v[110:111], v[4:5], s[12:13], -v[108:109]
	v_add_f64 v[10:11], v[110:111], v[10:11]
	v_mul_f64 v[110:111], v[104:105], s[36:37]
	v_fmac_f64_e32 v[108:109], s[12:13], v[4:5]
	v_add_f64 v[8:9], v[108:109], v[8:9]
	v_fma_f64 v[108:109], v[6:7], s[12:13], -v[110:111]
	v_add_f64 v[12:13], v[108:109], v[12:13]
	v_mul_f64 v[108:109], v[106:107], s[40:41]
	v_fma_f64 v[112:113], s[12:13], v[6:7], v[110:111]
	v_fma_f64 v[110:111], v[4:5], s[38:39], -v[108:109]
	v_add_f64 v[18:19], v[110:111], v[18:19]
	v_mul_f64 v[110:111], v[104:105], s[40:41]
	v_fmac_f64_e32 v[108:109], s[38:39], v[4:5]
	v_add_f64 v[16:17], v[108:109], v[16:17]
	v_fma_f64 v[108:109], v[6:7], s[38:39], -v[110:111]
	v_add_f64 v[20:21], v[108:109], v[20:21]
	v_mul_f64 v[108:109], v[106:107], s[54:55]
	v_add_f64 v[14:15], v[112:113], v[14:15]
	v_fma_f64 v[112:113], s[38:39], v[6:7], v[110:111]
	v_fma_f64 v[110:111], v[4:5], s[18:19], -v[108:109]
	v_add_f64 v[26:27], v[110:111], v[26:27]
	v_mul_f64 v[110:111], v[104:105], s[54:55]
	v_fmac_f64_e32 v[108:109], s[18:19], v[4:5]
	v_add_f64 v[24:25], v[108:109], v[24:25]
	v_fma_f64 v[108:109], v[6:7], s[18:19], -v[110:111]
	v_add_f64 v[22:23], v[112:113], v[22:23]
	v_fma_f64 v[112:113], s[18:19], v[6:7], v[110:111]
	v_add_f64 v[28:29], v[108:109], v[28:29]
	v_mul_f64 v[108:109], v[106:107], s[46:47]
	v_add_f64 v[30:31], v[112:113], v[30:31]
	v_fma_f64 v[110:111], v[4:5], s[22:23], -v[108:109]
	v_mul_f64 v[112:113], v[104:105], s[46:47]
	v_fmac_f64_e32 v[108:109], s[22:23], v[4:5]
	v_add_f64 v[0:1], v[114:115], v[0:1]
	v_fma_f64 v[114:115], s[22:23], v[6:7], v[112:113]
	v_add_f64 v[108:109], v[108:109], v[116:117]
	v_fma_f64 v[112:113], v[6:7], s[22:23], -v[112:113]
	v_mul_f64 v[116:117], v[106:107], s[50:51]
	v_add_f64 v[110:111], v[110:111], v[118:119]
	v_add_f64 v[112:113], v[112:113], v[120:121]
	v_fma_f64 v[118:119], v[4:5], s[14:15], -v[116:117]
	v_mul_f64 v[120:121], v[104:105], s[50:51]
	v_fmac_f64_e32 v[116:117], s[14:15], v[4:5]
	v_add_f64 v[114:115], v[114:115], v[124:125]
	v_fma_f64 v[124:125], s[14:15], v[6:7], v[120:121]
	v_add_f64 v[116:117], v[116:117], v[122:123]
	v_fma_f64 v[120:121], v[6:7], s[14:15], -v[120:121]
	v_mul_f64 v[122:123], v[106:107], s[34:35]
	v_add_f64 v[118:119], v[118:119], v[126:127]
	v_add_f64 v[120:121], v[120:121], v[128:129]
	v_fma_f64 v[126:127], v[4:5], s[30:31], -v[122:123]
	v_mul_f64 v[128:129], v[104:105], s[34:35]
	v_fmac_f64_e32 v[122:123], s[30:31], v[4:5]
	s_mov_b32 s59, 0x3fe9895b
	s_mov_b32 s58, s26
	v_add_f64 v[124:125], v[124:125], v[132:133]
	v_fma_f64 v[132:133], s[30:31], v[6:7], v[128:129]
	v_add_f64 v[122:123], v[122:123], v[130:131]
	v_fma_f64 v[128:129], v[6:7], s[30:31], -v[128:129]
	v_mul_f64 v[130:131], v[106:107], s[58:59]
	v_add_f64 v[126:127], v[126:127], v[134:135]
	v_add_f64 v[128:129], v[128:129], v[136:137]
	v_fma_f64 v[134:135], v[4:5], s[24:25], -v[130:131]
	v_mul_f64 v[136:137], v[104:105], s[58:59]
	v_fmac_f64_e32 v[130:131], s[24:25], v[4:5]
	v_mul_f64 v[106:107], v[106:107], s[48:49]
	v_mul_f64 v[104:105], v[104:105], s[48:49]
	v_add_f64 v[132:133], v[132:133], v[138:139]
	v_add_f64 v[134:135], v[134:135], v[142:143]
	v_fma_f64 v[138:139], s[24:25], v[6:7], v[136:137]
	v_add_f64 v[130:131], v[130:131], v[140:141]
	v_fma_f64 v[136:137], v[6:7], s[24:25], -v[136:137]
	v_fma_f64 v[140:141], v[4:5], s[16:17], -v[106:107]
	v_fma_f64 v[142:143], s[16:17], v[6:7], v[104:105]
	v_fmac_f64_e32 v[106:107], s[16:17], v[4:5]
	v_fma_f64 v[4:5], v[6:7], s[16:17], -v[104:105]
	v_add_f64 v[6:7], v[98:99], v[102:103]
	v_add_f64 v[98:99], v[98:99], -v[102:103]
	v_add_f64 v[2:3], v[4:5], v[2:3]
	v_add_f64 v[4:5], v[96:97], v[100:101]
	v_add_f64 v[96:97], v[96:97], -v[100:101]
	v_mul_f64 v[100:101], v[98:99], s[20:21]
	v_fma_f64 v[102:103], v[4:5], s[18:19], -v[100:101]
	v_add_f64 v[10:11], v[102:103], v[10:11]
	v_mul_f64 v[102:103], v[96:97], s[20:21]
	v_fmac_f64_e32 v[100:101], s[18:19], v[4:5]
	v_add_f64 v[8:9], v[100:101], v[8:9]
	v_fma_f64 v[100:101], v[6:7], s[18:19], -v[102:103]
	v_add_f64 v[12:13], v[100:101], v[12:13]
	v_mul_f64 v[100:101], v[98:99], s[56:57]
	v_fma_f64 v[104:105], s[18:19], v[6:7], v[102:103]
	v_fma_f64 v[102:103], v[4:5], s[30:31], -v[100:101]
	v_add_f64 v[18:19], v[102:103], v[18:19]
	v_mul_f64 v[102:103], v[96:97], s[56:57]
	v_fmac_f64_e32 v[100:101], s[30:31], v[4:5]
	v_add_f64 v[16:17], v[100:101], v[16:17]
	v_fma_f64 v[100:101], v[6:7], s[30:31], -v[102:103]
	v_add_f64 v[20:21], v[100:101], v[20:21]
	v_mul_f64 v[100:101], v[98:99], s[48:49]
	v_add_f64 v[14:15], v[104:105], v[14:15]
	v_fma_f64 v[104:105], s[30:31], v[6:7], v[102:103]
	v_fma_f64 v[102:103], v[4:5], s[16:17], -v[100:101]
	v_add_f64 v[26:27], v[102:103], v[26:27]
	v_mul_f64 v[102:103], v[96:97], s[48:49]
	v_fmac_f64_e32 v[100:101], s[16:17], v[4:5]
	v_add_f64 v[24:25], v[100:101], v[24:25]
	v_fma_f64 v[100:101], v[6:7], s[16:17], -v[102:103]
	v_add_f64 v[22:23], v[104:105], v[22:23]
	v_fma_f64 v[104:105], s[16:17], v[6:7], v[102:103]
	v_add_f64 v[28:29], v[100:101], v[28:29]
	v_mul_f64 v[100:101], v[98:99], s[50:51]
	v_add_f64 v[30:31], v[104:105], v[30:31]
	v_fma_f64 v[102:103], v[4:5], s[14:15], -v[100:101]
	v_mul_f64 v[104:105], v[96:97], s[50:51]
	v_fmac_f64_e32 v[100:101], s[14:15], v[4:5]
	v_add_f64 v[0:1], v[106:107], v[0:1]
	v_fma_f64 v[106:107], s[14:15], v[6:7], v[104:105]
	v_add_f64 v[100:101], v[100:101], v[108:109]
	v_fma_f64 v[104:105], v[6:7], s[14:15], -v[104:105]
	v_mul_f64 v[108:109], v[98:99], s[40:41]
	v_add_f64 v[102:103], v[102:103], v[110:111]
	v_add_f64 v[104:105], v[104:105], v[112:113]
	v_fma_f64 v[110:111], v[4:5], s[38:39], -v[108:109]
	v_mul_f64 v[112:113], v[96:97], s[40:41]
	v_fmac_f64_e32 v[108:109], s[38:39], v[4:5]
	s_mov_b32 s53, 0x3fefdd0d
	s_mov_b32 s52, s36
	v_add_f64 v[106:107], v[106:107], v[114:115]
	v_fma_f64 v[114:115], s[38:39], v[6:7], v[112:113]
	v_add_f64 v[108:109], v[108:109], v[116:117]
	v_fma_f64 v[112:113], v[6:7], s[38:39], -v[112:113]
	v_mul_f64 v[116:117], v[98:99], s[52:53]
	v_add_f64 v[110:111], v[110:111], v[118:119]
	v_add_f64 v[112:113], v[112:113], v[120:121]
	v_fma_f64 v[118:119], v[4:5], s[12:13], -v[116:117]
	v_mul_f64 v[120:121], v[96:97], s[52:53]
	v_fmac_f64_e32 v[116:117], s[12:13], v[4:5]
	v_add_f64 v[114:115], v[114:115], v[124:125]
	v_fma_f64 v[124:125], s[12:13], v[6:7], v[120:121]
	v_add_f64 v[116:117], v[116:117], v[122:123]
	v_fma_f64 v[120:121], v[6:7], s[12:13], -v[120:121]
	v_mul_f64 v[122:123], v[98:99], s[28:29]
	v_add_f64 v[118:119], v[118:119], v[126:127]
	v_add_f64 v[120:121], v[120:121], v[128:129]
	v_fma_f64 v[126:127], v[4:5], s[22:23], -v[122:123]
	v_mul_f64 v[128:129], v[96:97], s[28:29]
	v_fmac_f64_e32 v[122:123], s[22:23], v[4:5]
	v_mul_f64 v[98:99], v[98:99], s[26:27]
	v_mul_f64 v[96:97], v[96:97], s[26:27]
	v_add_f64 v[124:125], v[124:125], v[132:133]
	v_add_f64 v[126:127], v[126:127], v[134:135]
	v_fma_f64 v[132:133], s[22:23], v[6:7], v[128:129]
	v_add_f64 v[122:123], v[122:123], v[130:131]
	v_fma_f64 v[128:129], v[6:7], s[22:23], -v[128:129]
	v_fma_f64 v[130:131], v[4:5], s[24:25], -v[98:99]
	v_fma_f64 v[134:135], s[24:25], v[6:7], v[96:97]
	v_fmac_f64_e32 v[98:99], s[24:25], v[4:5]
	v_fma_f64 v[4:5], v[6:7], s[24:25], -v[96:97]
	v_add_f64 v[6:7], v[90:91], v[94:95]
	v_add_f64 v[90:91], v[90:91], -v[94:95]
	v_add_f64 v[2:3], v[4:5], v[2:3]
	v_add_f64 v[4:5], v[88:89], v[92:93]
	v_add_f64 v[88:89], v[88:89], -v[92:93]
	v_mul_f64 v[92:93], v[90:91], s[26:27]
	v_fma_f64 v[94:95], v[4:5], s[24:25], -v[92:93]
	v_add_f64 v[10:11], v[94:95], v[10:11]
	v_mul_f64 v[94:95], v[88:89], s[26:27]
	v_fmac_f64_e32 v[92:93], s[24:25], v[4:5]
	v_add_f64 v[8:9], v[92:93], v[8:9]
	v_fma_f64 v[92:93], v[6:7], s[24:25], -v[94:95]
	v_add_f64 v[12:13], v[92:93], v[12:13]
	v_mul_f64 v[92:93], v[90:91], s[54:55]
	v_fma_f64 v[96:97], s[24:25], v[6:7], v[94:95]
	v_fma_f64 v[94:95], v[4:5], s[18:19], -v[92:93]
	v_add_f64 v[18:19], v[94:95], v[18:19]
	v_mul_f64 v[94:95], v[88:89], s[54:55]
	v_fmac_f64_e32 v[92:93], s[18:19], v[4:5]
	v_add_f64 v[16:17], v[92:93], v[16:17]
	v_fma_f64 v[92:93], v[6:7], s[18:19], -v[94:95]
	v_add_f64 v[20:21], v[92:93], v[20:21]
	v_mul_f64 v[92:93], v[90:91], s[28:29]
	v_add_f64 v[14:15], v[96:97], v[14:15]
	v_fma_f64 v[96:97], s[18:19], v[6:7], v[94:95]
	v_fma_f64 v[94:95], v[4:5], s[22:23], -v[92:93]
	v_add_f64 v[26:27], v[94:95], v[26:27]
	v_mul_f64 v[94:95], v[88:89], s[28:29]
	v_fmac_f64_e32 v[92:93], s[22:23], v[4:5]
	v_add_f64 v[24:25], v[92:93], v[24:25]
	v_fma_f64 v[92:93], v[6:7], s[22:23], -v[94:95]
	v_add_f64 v[22:23], v[96:97], v[22:23]
	v_fma_f64 v[96:97], s[22:23], v[6:7], v[94:95]
	v_add_f64 v[28:29], v[92:93], v[28:29]
	v_mul_f64 v[92:93], v[90:91], s[34:35]
	v_add_f64 v[30:31], v[96:97], v[30:31]
	v_fma_f64 v[94:95], v[4:5], s[30:31], -v[92:93]
	v_mul_f64 v[96:97], v[88:89], s[34:35]
	v_fmac_f64_e32 v[92:93], s[30:31], v[4:5]
	v_add_f64 v[0:1], v[98:99], v[0:1]
	v_fma_f64 v[98:99], s[30:31], v[6:7], v[96:97]
	v_add_f64 v[92:93], v[92:93], v[100:101]
	v_fma_f64 v[96:97], v[6:7], s[30:31], -v[96:97]
	v_mul_f64 v[100:101], v[90:91], s[52:53]
	v_add_f64 v[94:95], v[94:95], v[102:103]
	v_add_f64 v[96:97], v[96:97], v[104:105]
	v_fma_f64 v[102:103], v[4:5], s[12:13], -v[100:101]
	v_mul_f64 v[104:105], v[88:89], s[52:53]
	v_fmac_f64_e32 v[100:101], s[12:13], v[4:5]
	v_add_f64 v[98:99], v[98:99], v[106:107]
	v_fma_f64 v[106:107], s[12:13], v[6:7], v[104:105]
	v_add_f64 v[100:101], v[100:101], v[108:109]
	v_fma_f64 v[104:105], v[6:7], s[12:13], -v[104:105]
	v_mul_f64 v[108:109], v[90:91], s[44:45]
	v_add_f64 v[102:103], v[102:103], v[110:111]
	;; [unrolled: 10-line block ×3, first 2 shown]
	v_add_f64 v[112:113], v[112:113], v[120:121]
	v_fma_f64 v[118:119], v[4:5], s[38:39], -v[116:117]
	v_mul_f64 v[120:121], v[88:89], s[40:41]
	v_fmac_f64_e32 v[116:117], s[38:39], v[4:5]
	v_mul_f64 v[90:91], v[90:91], s[42:43]
	v_mul_f64 v[88:89], v[88:89], s[42:43]
	v_add_f64 v[114:115], v[114:115], v[124:125]
	v_add_f64 v[118:119], v[118:119], v[126:127]
	v_fma_f64 v[124:125], s[38:39], v[6:7], v[120:121]
	v_add_f64 v[116:117], v[116:117], v[122:123]
	v_fma_f64 v[120:121], v[6:7], s[38:39], -v[120:121]
	v_fma_f64 v[122:123], v[4:5], s[14:15], -v[90:91]
	v_fma_f64 v[126:127], s[14:15], v[6:7], v[88:89]
	v_fmac_f64_e32 v[90:91], s[14:15], v[4:5]
	v_fma_f64 v[4:5], v[6:7], s[14:15], -v[88:89]
	v_add_f64 v[6:7], v[82:83], v[86:87]
	v_add_f64 v[82:83], v[82:83], -v[86:87]
	v_add_f64 v[2:3], v[4:5], v[2:3]
	v_add_f64 v[4:5], v[80:81], v[84:85]
	v_add_f64 v[80:81], v[80:81], -v[84:85]
	v_mul_f64 v[84:85], v[82:83], s[34:35]
	v_fma_f64 v[86:87], v[4:5], s[30:31], -v[84:85]
	v_add_f64 v[10:11], v[86:87], v[10:11]
	v_mul_f64 v[86:87], v[80:81], s[34:35]
	v_fmac_f64_e32 v[84:85], s[30:31], v[4:5]
	v_add_f64 v[8:9], v[84:85], v[8:9]
	v_fma_f64 v[84:85], v[6:7], s[30:31], -v[86:87]
	v_add_f64 v[12:13], v[84:85], v[12:13]
	v_mul_f64 v[84:85], v[82:83], s[42:43]
	v_fma_f64 v[88:89], s[30:31], v[6:7], v[86:87]
	v_fma_f64 v[86:87], v[4:5], s[14:15], -v[84:85]
	v_add_f64 v[18:19], v[86:87], v[18:19]
	v_mul_f64 v[86:87], v[80:81], s[42:43]
	v_fmac_f64_e32 v[84:85], s[14:15], v[4:5]
	v_add_f64 v[16:17], v[84:85], v[16:17]
	v_fma_f64 v[84:85], v[6:7], s[14:15], -v[86:87]
	v_add_f64 v[20:21], v[84:85], v[20:21]
	v_mul_f64 v[84:85], v[82:83], s[36:37]
	v_add_f64 v[14:15], v[88:89], v[14:15]
	v_fma_f64 v[88:89], s[14:15], v[6:7], v[86:87]
	v_fma_f64 v[86:87], v[4:5], s[12:13], -v[84:85]
	v_add_f64 v[152:153], v[152:153], v[160:161]
	v_add_f64 v[26:27], v[86:87], v[26:27]
	v_mul_f64 v[86:87], v[80:81], s[36:37]
	v_fmac_f64_e32 v[84:85], s[12:13], v[4:5]
	v_add_f64 v[156:157], v[156:157], v[164:165]
	v_add_f64 v[144:145], v[144:145], v[152:153]
	;; [unrolled: 1-line block ×3, first 2 shown]
	v_fma_f64 v[84:85], v[6:7], s[12:13], -v[86:87]
	v_add_f64 v[154:155], v[154:155], v[162:163]
	v_add_f64 v[148:149], v[148:149], v[156:157]
	;; [unrolled: 1-line block ×4, first 2 shown]
	v_mul_f64 v[84:85], v[82:83], s[58:59]
	v_add_f64 v[146:147], v[146:147], v[154:155]
	v_add_f64 v[140:141], v[140:141], v[148:149]
	;; [unrolled: 1-line block ×4, first 2 shown]
	v_fma_f64 v[88:89], s[12:13], v[6:7], v[86:87]
	v_fma_f64 v[86:87], v[4:5], s[24:25], -v[84:85]
	v_add_f64 v[158:159], v[158:159], v[166:167]
	v_add_f64 v[138:139], v[138:139], v[146:147]
	;; [unrolled: 1-line block ×5, first 2 shown]
	v_mul_f64 v[86:87], v[80:81], s[58:59]
	v_fmac_f64_e32 v[84:85], s[24:25], v[4:5]
	v_add_f64 v[150:151], v[150:151], v[158:159]
	v_add_f64 v[132:133], v[132:133], v[138:139]
	;; [unrolled: 1-line block ×4, first 2 shown]
	v_fma_f64 v[84:85], v[6:7], s[24:25], -v[86:87]
	v_add_f64 v[142:143], v[142:143], v[150:151]
	v_add_f64 v[124:125], v[124:125], v[132:133]
	;; [unrolled: 1-line block ×3, first 2 shown]
	v_mul_f64 v[84:85], v[82:83], s[28:29]
	v_add_f64 v[134:135], v[134:135], v[142:143]
	v_add_f64 v[30:31], v[88:89], v[30:31]
	v_fma_f64 v[88:89], s[24:25], v[6:7], v[86:87]
	v_fma_f64 v[86:87], v[4:5], s[22:23], -v[84:85]
	v_add_f64 v[126:127], v[126:127], v[134:135]
	v_add_f64 v[134:135], v[86:87], v[102:103]
	v_mul_f64 v[86:87], v[80:81], s[28:29]
	v_fmac_f64_e32 v[84:85], s[22:23], v[4:5]
	v_add_f64 v[136:137], v[84:85], v[100:101]
	v_fma_f64 v[84:85], v[6:7], s[22:23], -v[86:87]
	v_add_f64 v[138:139], v[84:85], v[104:105]
	v_mul_f64 v[84:85], v[82:83], s[40:41]
	v_add_f64 v[98:99], v[88:89], v[98:99]
	v_fma_f64 v[88:89], s[22:23], v[6:7], v[86:87]
	v_fma_f64 v[86:87], v[4:5], s[38:39], -v[84:85]
	v_add_f64 v[140:141], v[86:87], v[110:111]
	v_mul_f64 v[86:87], v[80:81], s[40:41]
	v_fmac_f64_e32 v[84:85], s[38:39], v[4:5]
	v_add_f64 v[142:143], v[84:85], v[108:109]
	v_fma_f64 v[84:85], v[6:7], s[38:39], -v[86:87]
	v_add_f64 v[144:145], v[84:85], v[112:113]
	v_mul_f64 v[84:85], v[82:83], s[48:49]
	v_add_f64 v[106:107], v[88:89], v[106:107]
	v_fma_f64 v[88:89], s[38:39], v[6:7], v[86:87]
	v_fma_f64 v[86:87], v[4:5], s[16:17], -v[84:85]
	v_add_f64 v[146:147], v[86:87], v[118:119]
	v_mul_f64 v[86:87], v[80:81], s[48:49]
	v_fmac_f64_e32 v[84:85], s[16:17], v[4:5]
	v_add_f64 v[148:149], v[84:85], v[116:117]
	v_fma_f64 v[84:85], v[6:7], s[16:17], -v[86:87]
	v_mul_f64 v[82:83], v[82:83], s[20:21]
	v_mul_f64 v[80:81], v[80:81], s[20:21]
	v_add_f64 v[150:151], v[84:85], v[120:121]
	v_fma_f64 v[84:85], v[4:5], s[18:19], -v[82:83]
	v_fmac_f64_e32 v[82:83], s[18:19], v[4:5]
	v_fma_f64 v[4:5], v[6:7], s[18:19], -v[80:81]
	v_add_f64 v[158:159], v[74:75], -v[78:79]
	v_add_f64 v[2:3], v[4:5], v[2:3]
	v_add_f64 v[4:5], v[72:73], v[76:77]
	v_add_f64 v[156:157], v[72:73], -v[76:77]
	v_mul_f64 v[76:77], v[158:159], s[40:41]
	v_fma_f64 v[72:73], v[4:5], s[38:39], -v[76:77]
	v_add_f64 v[114:115], v[88:89], v[114:115]
	v_fma_f64 v[88:89], s[16:17], v[6:7], v[86:87]
	v_add_f64 v[152:153], v[84:85], v[122:123]
	v_fma_f64 v[84:85], s[18:19], v[6:7], v[80:81]
	v_add_f64 v[6:7], v[74:75], v[78:79]
	v_add_f64 v[72:73], v[72:73], v[10:11]
	v_mul_f64 v[10:11], v[156:157], s[40:41]
	v_fmac_f64_e32 v[76:77], s[38:39], v[4:5]
	v_add_f64 v[76:77], v[76:77], v[8:9]
	v_fma_f64 v[8:9], v[6:7], s[38:39], -v[10:11]
	v_add_f64 v[78:79], v[8:9], v[12:13]
	v_mul_f64 v[8:9], v[158:159], s[46:47]
	v_fma_f64 v[74:75], s[38:39], v[6:7], v[10:11]
	v_fma_f64 v[10:11], v[4:5], s[22:23], -v[8:9]
	v_add_f64 v[80:81], v[10:11], v[18:19]
	v_mul_f64 v[10:11], v[156:157], s[46:47]
	v_fmac_f64_e32 v[8:9], s[22:23], v[4:5]
	v_add_f64 v[154:155], v[84:85], v[126:127]
	v_add_f64 v[84:85], v[8:9], v[16:17]
	v_fma_f64 v[8:9], v[6:7], s[22:23], -v[10:11]
	v_add_f64 v[86:87], v[8:9], v[20:21]
	v_mul_f64 v[8:9], v[158:159], s[34:35]
	v_fma_f64 v[12:13], s[22:23], v[6:7], v[10:11]
	v_fma_f64 v[10:11], v[4:5], s[30:31], -v[8:9]
	v_add_f64 v[124:125], v[88:89], v[124:125]
	v_add_f64 v[88:89], v[10:11], v[26:27]
	v_mul_f64 v[10:11], v[156:157], s[34:35]
	v_fmac_f64_e32 v[8:9], s[30:31], v[4:5]
	v_add_f64 v[92:93], v[8:9], v[24:25]
	v_fma_f64 v[8:9], v[6:7], s[30:31], -v[10:11]
	v_add_f64 v[0:1], v[90:91], v[0:1]
	v_add_f64 v[94:95], v[8:9], v[28:29]
	v_mul_f64 v[8:9], v[158:159], s[48:49]
	v_add_f64 v[0:1], v[82:83], v[0:1]
	v_add_f64 v[82:83], v[12:13], v[22:23]
	v_fma_f64 v[12:13], s[30:31], v[6:7], v[10:11]
	v_fma_f64 v[10:11], v[4:5], s[16:17], -v[8:9]
	v_add_f64 v[96:97], v[10:11], v[128:129]
	v_mul_f64 v[10:11], v[156:157], s[48:49]
	v_fmac_f64_e32 v[8:9], s[16:17], v[4:5]
	v_add_f64 v[100:101], v[8:9], v[130:131]
	v_fma_f64 v[8:9], v[6:7], s[16:17], -v[10:11]
	v_add_f64 v[102:103], v[8:9], v[132:133]
	v_mul_f64 v[8:9], v[158:159], s[26:27]
	v_add_f64 v[90:91], v[12:13], v[30:31]
	v_fma_f64 v[12:13], s[16:17], v[6:7], v[10:11]
	v_fma_f64 v[10:11], v[4:5], s[24:25], -v[8:9]
	v_add_f64 v[104:105], v[10:11], v[134:135]
	v_mul_f64 v[10:11], v[156:157], s[26:27]
	v_fmac_f64_e32 v[8:9], s[24:25], v[4:5]
	v_add_f64 v[108:109], v[8:9], v[136:137]
	v_fma_f64 v[8:9], v[6:7], s[24:25], -v[10:11]
	v_add_f64 v[110:111], v[8:9], v[138:139]
	v_mul_f64 v[8:9], v[158:159], s[42:43]
	;; [unrolled: 10-line block ×3, first 2 shown]
	v_add_f64 v[106:107], v[12:13], v[106:107]
	v_fma_f64 v[12:13], s[14:15], v[6:7], v[10:11]
	v_fma_f64 v[10:11], v[4:5], s[18:19], -v[8:9]
	v_add_f64 v[120:121], v[10:11], v[146:147]
	v_mul_f64 v[10:11], v[156:157], s[20:21]
	v_add_f64 v[114:115], v[12:13], v[114:115]
	v_fma_f64 v[12:13], s[18:19], v[6:7], v[10:11]
	v_fmac_f64_e32 v[8:9], s[18:19], v[4:5]
	v_add_f64 v[122:123], v[12:13], v[124:125]
	v_add_f64 v[124:125], v[8:9], v[148:149]
	v_fma_f64 v[8:9], v[6:7], s[18:19], -v[10:11]
	v_add_f64 v[126:127], v[8:9], v[150:151]
	v_mul_f64 v[8:9], v[158:159], s[52:53]
	v_fma_f64 v[10:11], v[4:5], s[12:13], -v[8:9]
	s_movk_i32 s60, 0xffef
	v_add_f64 v[128:129], v[10:11], v[152:153]
	v_mul_f64 v[10:11], v[156:157], s[52:53]
	v_fmac_f64_e32 v[8:9], s[12:13], v[4:5]
	s_mov_b32 s61, -1
	v_add_f64 v[132:133], v[8:9], v[0:1]
	v_fma_f64 v[0:1], v[6:7], s[12:13], -v[10:11]
	v_lshl_add_u64 v[208:209], v[232:233], 0, s[60:61]
	v_cmp_gt_u16_e32 vcc, 17, v232
	v_add_f64 v[134:135], v[0:1], v[2:3]
	v_mul_lo_u16_e32 v0, 17, v232
	v_cndmask_b32_e64 v141, v209, 0, vcc
	v_cndmask_b32_e32 v140, v208, v232, vcc
	v_fma_f64 v[12:13], s[12:13], v[6:7], v[10:11]
	v_lshl_add_u32 v248, v0, 4, v250
	v_lshlrev_b64 v[0:1], 8, v[140:141]
	v_add_f64 v[74:75], v[74:75], v[14:15]
	v_add_f64 v[130:131], v[12:13], v[154:155]
	v_lshl_add_u64 v[0:1], s[10:11], 0, v[0:1]
	s_barrier
	ds_write_b128 v248, v[68:71]
	ds_write_b128 v248, v[72:75] offset:16
	ds_write_b128 v248, v[80:83] offset:32
	;; [unrolled: 1-line block ×16, first 2 shown]
	s_waitcnt lgkmcnt(0)
	s_barrier
	global_load_dwordx4 v[80:83], v[0:1], off
	global_load_dwordx4 v[76:79], v[0:1], off offset:16
	global_load_dwordx4 v[72:75], v[0:1], off offset:32
	;; [unrolled: 1-line block ×15, first 2 shown]
	ds_read_b128 v[136:139], v235
	ds_read_b128 v[132:135], v235 offset:544
	ds_read_b128 v[142:145], v235 offset:1088
	;; [unrolled: 1-line block ×16, first 2 shown]
	s_waitcnt lgkmcnt(0)
	s_barrier
	v_accvgpr_write_b32 a32, v38
	v_accvgpr_write_b32 a44, v50
	;; [unrolled: 1-line block ×20, first 2 shown]
	s_waitcnt vmcnt(15)
	v_mul_f64 v[0:1], v[134:135], v[82:83]
	v_mul_f64 v[2:3], v[132:133], v[82:83]
	s_waitcnt vmcnt(14)
	v_mul_f64 v[4:5], v[144:145], v[78:79]
	v_fma_f64 v[0:1], v[132:133], v[80:81], -v[0:1]
	v_fmac_f64_e32 v[2:3], v[134:135], v[80:81]
	v_fma_f64 v[192:193], v[142:143], v[76:77], -v[4:5]
	v_mul_f64 v[190:191], v[142:143], v[78:79]
	s_waitcnt vmcnt(13)
	v_mul_f64 v[4:5], v[148:149], v[74:75]
	v_fmac_f64_e32 v[190:191], v[144:145], v[76:77]
	v_fma_f64 v[184:185], v[146:147], v[72:73], -v[4:5]
	v_mul_f64 v[182:183], v[146:147], v[74:75]
	s_waitcnt vmcnt(12)
	v_mul_f64 v[4:5], v[152:153], v[70:71]
	v_add_f64 v[12:13], v[136:137], v[0:1]
	v_add_f64 v[14:15], v[138:139], v[2:3]
	v_fmac_f64_e32 v[182:183], v[148:149], v[72:73]
	v_fma_f64 v[176:177], v[150:151], v[68:69], -v[4:5]
	v_mul_f64 v[174:175], v[150:151], v[70:71]
	s_waitcnt vmcnt(11)
	v_mul_f64 v[4:5], v[156:157], v[98:99]
	v_add_f64 v[12:13], v[12:13], v[192:193]
	v_add_f64 v[14:15], v[14:15], v[190:191]
	;; [unrolled: 7-line block ×3, first 2 shown]
	v_fmac_f64_e32 v[166:167], v[156:157], v[96:97]
	v_fma_f64 v[158:159], v[160:161], v[92:93], -v[4:5]
	v_mul_f64 v[160:161], v[160:161], v[94:95]
	v_add_f64 v[12:13], v[12:13], v[176:177]
	v_add_f64 v[14:15], v[14:15], v[174:175]
	v_fmac_f64_e32 v[160:161], v[162:163], v[92:93]
	s_waitcnt vmcnt(9)
	v_mul_f64 v[4:5], v[172:173], v[90:91]
	v_mul_f64 v[152:153], v[170:171], v[90:91]
	v_add_f64 v[12:13], v[12:13], v[168:169]
	v_add_f64 v[14:15], v[14:15], v[166:167]
	v_fma_f64 v[150:151], v[170:171], v[88:89], -v[4:5]
	v_fmac_f64_e32 v[152:153], v[172:173], v[88:89]
	s_waitcnt vmcnt(8)
	v_mul_f64 v[4:5], v[180:181], v[86:87]
	v_mul_f64 v[144:145], v[178:179], v[86:87]
	v_add_f64 v[12:13], v[12:13], v[158:159]
	v_add_f64 v[14:15], v[14:15], v[160:161]
	v_fma_f64 v[142:143], v[178:179], v[84:85], -v[4:5]
	;; [unrolled: 7-line block ×10, first 2 shown]
	v_fmac_f64_e32 v[10:11], v[224:225], v[116:117]
	v_add_f64 v[12:13], v[12:13], v[4:5]
	v_add_f64 v[14:15], v[14:15], v[6:7]
	;; [unrolled: 1-line block ×6, first 2 shown]
	v_add_f64 v[0:1], v[0:1], -v[8:9]
	v_add_f64 v[2:3], v[2:3], -v[10:11]
	v_mul_f64 v[8:9], v[2:3], s[28:29]
	v_mul_f64 v[16:17], v[0:1], s[28:29]
	;; [unrolled: 1-line block ×16, first 2 shown]
	v_fma_f64 v[10:11], v[12:13], s[22:23], -v[8:9]
	v_fma_f64 v[18:19], s[22:23], v[14:15], v[16:17]
	v_fmac_f64_e32 v[8:9], s[22:23], v[12:13]
	v_fma_f64 v[16:17], v[14:15], s[22:23], -v[16:17]
	v_fma_f64 v[22:23], v[12:13], s[16:17], -v[20:21]
	v_fmac_f64_e32 v[20:21], s[16:17], v[12:13]
	v_fma_f64 v[28:29], v[12:13], s[14:15], -v[26:27]
	v_fmac_f64_e32 v[26:27], s[14:15], v[12:13]
	;; [unrolled: 2-line block ×7, first 2 shown]
	v_fma_f64 v[12:13], s[16:17], v[14:15], v[24:25]
	v_fma_f64 v[24:25], v[14:15], s[16:17], -v[24:25]
	v_fma_f64 v[214:215], s[14:15], v[14:15], v[212:213]
	v_fma_f64 v[212:213], v[14:15], s[14:15], -v[212:213]
	;; [unrolled: 2-line block ×7, first 2 shown]
	v_add_f64 v[14:15], v[138:139], v[18:19]
	v_add_f64 v[16:17], v[138:139], v[16:17]
	;; [unrolled: 1-line block ×19, first 2 shown]
	v_add_f64 v[6:7], v[190:191], -v[6:7]
	v_add_f64 v[10:11], v[136:137], v[10:11]
	v_add_f64 v[8:9], v[136:137], v[8:9]
	;; [unrolled: 1-line block ×15, first 2 shown]
	v_mul_f64 v[190:191], v[6:7], s[44:45]
	v_add_f64 v[4:5], v[192:193], -v[4:5]
	v_fma_f64 v[192:193], v[136:137], s[16:17], -v[190:191]
	v_add_f64 v[10:11], v[192:193], v[10:11]
	v_mul_f64 v[192:193], v[4:5], s[44:45]
	v_fmac_f64_e32 v[190:191], s[16:17], v[136:137]
	v_add_f64 v[8:9], v[190:191], v[8:9]
	v_fma_f64 v[190:191], v[138:139], s[16:17], -v[192:193]
	v_add_f64 v[16:17], v[190:191], v[16:17]
	v_mul_f64 v[190:191], v[6:7], s[36:37]
	v_fma_f64 v[236:237], s[16:17], v[138:139], v[192:193]
	v_fma_f64 v[192:193], v[136:137], s[12:13], -v[190:191]
	v_add_f64 v[18:19], v[192:193], v[18:19]
	v_mul_f64 v[192:193], v[4:5], s[36:37]
	v_fmac_f64_e32 v[190:191], s[12:13], v[136:137]
	v_add_f64 v[20:21], v[190:191], v[20:21]
	v_fma_f64 v[190:191], v[138:139], s[12:13], -v[192:193]
	v_add_f64 v[22:23], v[190:191], v[22:23]
	v_mul_f64 v[190:191], v[6:7], s[26:27]
	v_add_f64 v[14:15], v[236:237], v[14:15]
	v_fma_f64 v[236:237], s[12:13], v[138:139], v[192:193]
	v_fma_f64 v[192:193], v[136:137], s[24:25], -v[190:191]
	v_add_f64 v[24:25], v[192:193], v[24:25]
	v_mul_f64 v[192:193], v[4:5], s[26:27]
	v_fmac_f64_e32 v[190:191], s[24:25], v[136:137]
	v_add_f64 v[12:13], v[236:237], v[12:13]
	v_fma_f64 v[236:237], s[24:25], v[138:139], v[192:193]
	v_add_f64 v[26:27], v[190:191], v[26:27]
	v_fma_f64 v[190:191], v[138:139], s[24:25], -v[192:193]
	v_mul_f64 v[192:193], v[6:7], s[40:41]
	v_add_f64 v[190:191], v[190:191], v[212:213]
	v_fma_f64 v[212:213], v[136:137], s[38:39], -v[192:193]
	v_add_f64 v[194:195], v[212:213], v[194:195]
	v_mul_f64 v[212:213], v[4:5], s[40:41]
	v_fmac_f64_e32 v[192:193], s[38:39], v[136:137]
	v_add_f64 v[28:29], v[236:237], v[28:29]
	v_fma_f64 v[236:237], s[38:39], v[138:139], v[212:213]
	v_add_f64 v[30:31], v[192:193], v[30:31]
	v_fma_f64 v[192:193], v[138:139], s[38:39], -v[212:213]
	v_mul_f64 v[212:213], v[6:7], s[56:57]
	v_add_f64 v[192:193], v[192:193], v[216:217]
	;; [unrolled: 10-line block ×4, first 2 shown]
	v_fma_f64 v[224:225], v[136:137], s[14:15], -v[220:221]
	v_add_f64 v[206:207], v[224:225], v[206:207]
	v_mul_f64 v[224:225], v[4:5], s[42:43]
	v_fmac_f64_e32 v[220:221], s[14:15], v[136:137]
	v_mul_f64 v[6:7], v[6:7], s[46:47]
	v_add_f64 v[222:223], v[236:237], v[222:223]
	v_fma_f64 v[236:237], s[14:15], v[138:139], v[224:225]
	v_add_f64 v[204:205], v[220:221], v[204:205]
	v_fma_f64 v[220:221], v[138:139], s[14:15], -v[224:225]
	v_fma_f64 v[224:225], v[136:137], s[22:23], -v[6:7]
	v_mul_f64 v[4:5], v[4:5], s[46:47]
	v_add_f64 v[210:211], v[224:225], v[210:211]
	v_fma_f64 v[224:225], s[22:23], v[138:139], v[4:5]
	v_fma_f64 v[4:5], v[138:139], s[22:23], -v[4:5]
	v_add_f64 v[138:139], v[182:183], -v[186:187]
	v_fmac_f64_e32 v[6:7], s[22:23], v[136:137]
	v_add_f64 v[0:1], v[4:5], v[0:1]
	v_add_f64 v[4:5], v[184:185], v[188:189]
	;; [unrolled: 1-line block ×3, first 2 shown]
	v_mul_f64 v[182:183], v[138:139], s[50:51]
	v_add_f64 v[2:3], v[6:7], v[2:3]
	v_add_f64 v[6:7], v[184:185], -v[188:189]
	v_fma_f64 v[184:185], v[4:5], s[14:15], -v[182:183]
	v_add_f64 v[10:11], v[184:185], v[10:11]
	v_mul_f64 v[184:185], v[6:7], s[50:51]
	v_fmac_f64_e32 v[182:183], s[14:15], v[4:5]
	v_add_f64 v[8:9], v[182:183], v[8:9]
	v_fma_f64 v[182:183], v[136:137], s[14:15], -v[184:185]
	v_add_f64 v[16:17], v[182:183], v[16:17]
	v_mul_f64 v[182:183], v[138:139], s[26:27]
	v_fma_f64 v[186:187], s[14:15], v[136:137], v[184:185]
	v_fma_f64 v[184:185], v[4:5], s[24:25], -v[182:183]
	v_add_f64 v[18:19], v[184:185], v[18:19]
	v_mul_f64 v[184:185], v[6:7], s[26:27]
	v_fmac_f64_e32 v[182:183], s[24:25], v[4:5]
	v_add_f64 v[20:21], v[182:183], v[20:21]
	v_fma_f64 v[182:183], v[136:137], s[24:25], -v[184:185]
	v_add_f64 v[22:23], v[182:183], v[22:23]
	v_mul_f64 v[182:183], v[138:139], s[2:3]
	v_add_f64 v[14:15], v[186:187], v[14:15]
	v_fma_f64 v[186:187], s[24:25], v[136:137], v[184:185]
	v_fma_f64 v[184:185], v[4:5], s[38:39], -v[182:183]
	v_add_f64 v[24:25], v[184:185], v[24:25]
	v_mul_f64 v[184:185], v[6:7], s[2:3]
	v_fmac_f64_e32 v[182:183], s[38:39], v[4:5]
	v_add_f64 v[12:13], v[186:187], v[12:13]
	v_fma_f64 v[186:187], s[38:39], v[136:137], v[184:185]
	v_add_f64 v[26:27], v[182:183], v[26:27]
	v_fma_f64 v[182:183], v[136:137], s[38:39], -v[184:185]
	v_mul_f64 v[184:185], v[138:139], s[54:55]
	v_add_f64 v[28:29], v[186:187], v[28:29]
	v_fma_f64 v[186:187], v[4:5], s[18:19], -v[184:185]
	v_mul_f64 v[188:189], v[6:7], s[54:55]
	v_fmac_f64_e32 v[184:185], s[18:19], v[4:5]
	v_add_f64 v[182:183], v[182:183], v[190:191]
	v_fma_f64 v[190:191], s[18:19], v[136:137], v[188:189]
	v_add_f64 v[30:31], v[184:185], v[30:31]
	v_fma_f64 v[184:185], v[136:137], s[18:19], -v[188:189]
	v_mul_f64 v[188:189], v[138:139], s[48:49]
	v_add_f64 v[186:187], v[186:187], v[194:195]
	v_add_f64 v[184:185], v[184:185], v[192:193]
	v_fma_f64 v[192:193], v[4:5], s[16:17], -v[188:189]
	v_mul_f64 v[194:195], v[6:7], s[48:49]
	v_fmac_f64_e32 v[188:189], s[16:17], v[4:5]
	v_add_f64 v[192:193], v[192:193], v[198:199]
	v_fma_f64 v[198:199], s[16:17], v[136:137], v[194:195]
	v_add_f64 v[188:189], v[188:189], v[196:197]
	v_fma_f64 v[194:195], v[136:137], s[16:17], -v[194:195]
	v_mul_f64 v[196:197], v[138:139], s[28:29]
	v_add_f64 v[194:195], v[194:195], v[212:213]
	v_fma_f64 v[212:213], v[4:5], s[22:23], -v[196:197]
	v_add_f64 v[202:203], v[212:213], v[202:203]
	v_mul_f64 v[212:213], v[6:7], s[28:29]
	v_fmac_f64_e32 v[196:197], s[22:23], v[4:5]
	v_add_f64 v[190:191], v[190:191], v[214:215]
	v_fma_f64 v[214:215], s[22:23], v[136:137], v[212:213]
	v_add_f64 v[196:197], v[196:197], v[200:201]
	v_fma_f64 v[200:201], v[136:137], s[22:23], -v[212:213]
	v_mul_f64 v[212:213], v[138:139], s[36:37]
	v_add_f64 v[200:201], v[200:201], v[216:217]
	v_fma_f64 v[216:217], v[4:5], s[12:13], -v[212:213]
	v_add_f64 v[206:207], v[216:217], v[206:207]
	v_mul_f64 v[216:217], v[6:7], s[36:37]
	v_fmac_f64_e32 v[212:213], s[12:13], v[4:5]
	v_mul_f64 v[138:139], v[138:139], s[34:35]
	v_add_f64 v[198:199], v[198:199], v[218:219]
	v_fma_f64 v[218:219], s[12:13], v[136:137], v[216:217]
	v_add_f64 v[204:205], v[212:213], v[204:205]
	v_fma_f64 v[212:213], v[136:137], s[12:13], -v[216:217]
	v_fma_f64 v[216:217], v[4:5], s[30:31], -v[138:139]
	v_mul_f64 v[6:7], v[6:7], s[34:35]
	v_fmac_f64_e32 v[138:139], s[30:31], v[4:5]
	v_add_f64 v[2:3], v[138:139], v[2:3]
	v_fma_f64 v[4:5], v[136:137], s[30:31], -v[6:7]
	v_add_f64 v[138:139], v[174:175], -v[178:179]
	v_add_f64 v[210:211], v[216:217], v[210:211]
	v_fma_f64 v[216:217], s[30:31], v[136:137], v[6:7]
	v_add_f64 v[0:1], v[4:5], v[0:1]
	v_add_f64 v[4:5], v[176:177], v[180:181]
	;; [unrolled: 1-line block ×3, first 2 shown]
	v_mul_f64 v[174:175], v[138:139], s[36:37]
	v_add_f64 v[6:7], v[176:177], -v[180:181]
	v_fma_f64 v[176:177], v[4:5], s[12:13], -v[174:175]
	v_add_f64 v[10:11], v[176:177], v[10:11]
	v_mul_f64 v[176:177], v[6:7], s[36:37]
	v_fmac_f64_e32 v[174:175], s[12:13], v[4:5]
	v_add_f64 v[8:9], v[174:175], v[8:9]
	v_fma_f64 v[174:175], v[136:137], s[12:13], -v[176:177]
	v_add_f64 v[16:17], v[174:175], v[16:17]
	v_mul_f64 v[174:175], v[138:139], s[40:41]
	v_fma_f64 v[178:179], s[12:13], v[136:137], v[176:177]
	v_fma_f64 v[176:177], v[4:5], s[38:39], -v[174:175]
	v_add_f64 v[18:19], v[176:177], v[18:19]
	v_mul_f64 v[176:177], v[6:7], s[40:41]
	v_fmac_f64_e32 v[174:175], s[38:39], v[4:5]
	v_add_f64 v[20:21], v[174:175], v[20:21]
	v_fma_f64 v[174:175], v[136:137], s[38:39], -v[176:177]
	v_add_f64 v[22:23], v[174:175], v[22:23]
	v_mul_f64 v[174:175], v[138:139], s[54:55]
	v_add_f64 v[14:15], v[178:179], v[14:15]
	v_fma_f64 v[178:179], s[38:39], v[136:137], v[176:177]
	v_fma_f64 v[176:177], v[4:5], s[18:19], -v[174:175]
	v_add_f64 v[24:25], v[176:177], v[24:25]
	v_mul_f64 v[176:177], v[6:7], s[54:55]
	v_fmac_f64_e32 v[174:175], s[18:19], v[4:5]
	v_add_f64 v[12:13], v[178:179], v[12:13]
	v_fma_f64 v[178:179], s[18:19], v[136:137], v[176:177]
	v_add_f64 v[26:27], v[174:175], v[26:27]
	v_fma_f64 v[174:175], v[136:137], s[18:19], -v[176:177]
	v_mul_f64 v[176:177], v[138:139], s[46:47]
	v_add_f64 v[28:29], v[178:179], v[28:29]
	v_fma_f64 v[178:179], v[4:5], s[22:23], -v[176:177]
	v_mul_f64 v[180:181], v[6:7], s[46:47]
	v_fmac_f64_e32 v[176:177], s[22:23], v[4:5]
	v_add_f64 v[174:175], v[174:175], v[182:183]
	v_fma_f64 v[182:183], s[22:23], v[136:137], v[180:181]
	v_add_f64 v[30:31], v[176:177], v[30:31]
	v_fma_f64 v[176:177], v[136:137], s[22:23], -v[180:181]
	v_mul_f64 v[180:181], v[138:139], s[50:51]
	v_add_f64 v[178:179], v[178:179], v[186:187]
	v_add_f64 v[176:177], v[176:177], v[184:185]
	v_fma_f64 v[184:185], v[4:5], s[14:15], -v[180:181]
	v_mul_f64 v[186:187], v[6:7], s[50:51]
	v_fmac_f64_e32 v[180:181], s[14:15], v[4:5]
	v_add_f64 v[182:183], v[182:183], v[190:191]
	v_fma_f64 v[190:191], s[14:15], v[136:137], v[186:187]
	v_add_f64 v[180:181], v[180:181], v[188:189]
	v_fma_f64 v[186:187], v[136:137], s[14:15], -v[186:187]
	v_mul_f64 v[188:189], v[138:139], s[34:35]
	v_add_f64 v[184:185], v[184:185], v[192:193]
	;; [unrolled: 10-line block ×3, first 2 shown]
	v_fma_f64 v[200:201], v[4:5], s[24:25], -v[196:197]
	v_fmac_f64_e32 v[196:197], s[24:25], v[4:5]
	v_mul_f64 v[138:139], v[138:139], s[48:49]
	v_add_f64 v[192:193], v[192:193], v[202:203]
	v_mul_f64 v[202:203], v[6:7], s[58:59]
	v_add_f64 v[196:197], v[196:197], v[204:205]
	v_fma_f64 v[204:205], v[4:5], s[16:17], -v[138:139]
	v_mul_f64 v[6:7], v[6:7], s[48:49]
	v_fmac_f64_e32 v[138:139], s[16:17], v[4:5]
	v_add_f64 v[2:3], v[138:139], v[2:3]
	v_fma_f64 v[4:5], v[136:137], s[16:17], -v[6:7]
	v_add_f64 v[138:139], v[166:167], -v[170:171]
	v_add_f64 v[204:205], v[204:205], v[210:211]
	v_fma_f64 v[210:211], s[16:17], v[136:137], v[6:7]
	v_add_f64 v[0:1], v[4:5], v[0:1]
	v_add_f64 v[4:5], v[168:169], v[172:173]
	;; [unrolled: 1-line block ×3, first 2 shown]
	v_mul_f64 v[166:167], v[138:139], s[20:21]
	v_add_f64 v[200:201], v[200:201], v[206:207]
	v_fma_f64 v[206:207], s[24:25], v[136:137], v[202:203]
	v_fma_f64 v[202:203], v[136:137], s[24:25], -v[202:203]
	v_add_f64 v[136:137], v[168:169], -v[172:173]
	v_fma_f64 v[168:169], v[4:5], s[18:19], -v[166:167]
	v_add_f64 v[10:11], v[168:169], v[10:11]
	v_mul_f64 v[168:169], v[136:137], s[20:21]
	v_fmac_f64_e32 v[166:167], s[18:19], v[4:5]
	v_add_f64 v[8:9], v[166:167], v[8:9]
	v_fma_f64 v[166:167], v[6:7], s[18:19], -v[168:169]
	v_add_f64 v[16:17], v[166:167], v[16:17]
	v_mul_f64 v[166:167], v[138:139], s[56:57]
	v_fma_f64 v[170:171], s[18:19], v[6:7], v[168:169]
	v_fma_f64 v[168:169], v[4:5], s[30:31], -v[166:167]
	v_add_f64 v[18:19], v[168:169], v[18:19]
	v_mul_f64 v[168:169], v[136:137], s[56:57]
	v_fmac_f64_e32 v[166:167], s[30:31], v[4:5]
	v_add_f64 v[20:21], v[166:167], v[20:21]
	v_fma_f64 v[166:167], v[6:7], s[30:31], -v[168:169]
	v_add_f64 v[22:23], v[166:167], v[22:23]
	v_mul_f64 v[166:167], v[138:139], s[48:49]
	v_add_f64 v[14:15], v[170:171], v[14:15]
	v_fma_f64 v[170:171], s[30:31], v[6:7], v[168:169]
	v_fma_f64 v[168:169], v[4:5], s[16:17], -v[166:167]
	v_add_f64 v[24:25], v[168:169], v[24:25]
	v_mul_f64 v[168:169], v[136:137], s[48:49]
	v_fmac_f64_e32 v[166:167], s[16:17], v[4:5]
	v_add_f64 v[12:13], v[170:171], v[12:13]
	v_fma_f64 v[170:171], s[16:17], v[6:7], v[168:169]
	v_add_f64 v[26:27], v[166:167], v[26:27]
	v_fma_f64 v[166:167], v[6:7], s[16:17], -v[168:169]
	v_mul_f64 v[168:169], v[138:139], s[50:51]
	v_add_f64 v[28:29], v[170:171], v[28:29]
	v_fma_f64 v[170:171], v[4:5], s[14:15], -v[168:169]
	v_mul_f64 v[172:173], v[136:137], s[50:51]
	v_fmac_f64_e32 v[168:169], s[14:15], v[4:5]
	v_add_f64 v[166:167], v[166:167], v[174:175]
	v_fma_f64 v[174:175], s[14:15], v[6:7], v[172:173]
	v_add_f64 v[30:31], v[168:169], v[30:31]
	v_fma_f64 v[168:169], v[6:7], s[14:15], -v[172:173]
	v_mul_f64 v[172:173], v[138:139], s[40:41]
	v_add_f64 v[168:169], v[168:169], v[176:177]
	v_fma_f64 v[176:177], v[4:5], s[38:39], -v[172:173]
	v_fmac_f64_e32 v[172:173], s[38:39], v[4:5]
	v_add_f64 v[170:171], v[170:171], v[178:179]
	v_mul_f64 v[178:179], v[136:137], s[40:41]
	v_add_f64 v[172:173], v[172:173], v[180:181]
	v_mul_f64 v[180:181], v[138:139], s[52:53]
	v_add_f64 v[174:175], v[174:175], v[182:183]
	v_add_f64 v[176:177], v[176:177], v[184:185]
	v_fma_f64 v[182:183], s[38:39], v[6:7], v[178:179]
	v_fma_f64 v[178:179], v[6:7], s[38:39], -v[178:179]
	v_fma_f64 v[184:185], v[4:5], s[12:13], -v[180:181]
	v_fmac_f64_e32 v[180:181], s[12:13], v[4:5]
	v_add_f64 v[178:179], v[178:179], v[186:187]
	v_mul_f64 v[186:187], v[136:137], s[52:53]
	v_add_f64 v[180:181], v[180:181], v[188:189]
	v_mul_f64 v[188:189], v[138:139], s[28:29]
	v_add_f64 v[182:183], v[182:183], v[190:191]
	v_add_f64 v[184:185], v[184:185], v[192:193]
	v_fma_f64 v[190:191], s[12:13], v[6:7], v[186:187]
	v_fma_f64 v[186:187], v[6:7], s[12:13], -v[186:187]
	v_fma_f64 v[192:193], v[4:5], s[22:23], -v[188:189]
	v_fmac_f64_e32 v[188:189], s[22:23], v[4:5]
	v_mul_f64 v[138:139], v[138:139], s[26:27]
	v_add_f64 v[186:187], v[186:187], v[194:195]
	v_mul_f64 v[194:195], v[136:137], s[28:29]
	v_add_f64 v[188:189], v[188:189], v[196:197]
	v_fma_f64 v[196:197], v[4:5], s[24:25], -v[138:139]
	v_mul_f64 v[136:137], v[136:137], s[26:27]
	v_fmac_f64_e32 v[138:139], s[24:25], v[4:5]
	v_add_f64 v[214:215], v[214:215], v[222:223]
	v_add_f64 v[2:3], v[138:139], v[2:3]
	v_fma_f64 v[4:5], v[6:7], s[24:25], -v[136:137]
	v_add_f64 v[138:139], v[160:161], -v[164:165]
	v_add_f64 v[198:199], v[198:199], v[214:215]
	v_add_f64 v[192:193], v[192:193], v[200:201]
	v_fma_f64 v[200:201], s[24:25], v[6:7], v[136:137]
	v_add_f64 v[0:1], v[4:5], v[0:1]
	v_add_f64 v[4:5], v[158:159], v[162:163]
	v_add_f64 v[136:137], v[158:159], -v[162:163]
	v_mul_f64 v[158:159], v[138:139], s[26:27]
	v_add_f64 v[190:191], v[190:191], v[198:199]
	v_fma_f64 v[198:199], s[22:23], v[6:7], v[194:195]
	v_fma_f64 v[194:195], v[6:7], s[22:23], -v[194:195]
	v_add_f64 v[6:7], v[160:161], v[164:165]
	v_fma_f64 v[160:161], v[4:5], s[24:25], -v[158:159]
	v_add_f64 v[10:11], v[160:161], v[10:11]
	v_mul_f64 v[160:161], v[136:137], s[26:27]
	v_fmac_f64_e32 v[158:159], s[24:25], v[4:5]
	v_add_f64 v[8:9], v[158:159], v[8:9]
	v_fma_f64 v[158:159], v[6:7], s[24:25], -v[160:161]
	v_add_f64 v[16:17], v[158:159], v[16:17]
	v_mul_f64 v[158:159], v[138:139], s[54:55]
	v_fma_f64 v[162:163], s[24:25], v[6:7], v[160:161]
	v_fma_f64 v[160:161], v[4:5], s[18:19], -v[158:159]
	v_add_f64 v[18:19], v[160:161], v[18:19]
	v_mul_f64 v[160:161], v[136:137], s[54:55]
	v_fmac_f64_e32 v[158:159], s[18:19], v[4:5]
	v_add_f64 v[20:21], v[158:159], v[20:21]
	v_fma_f64 v[158:159], v[6:7], s[18:19], -v[160:161]
	v_add_f64 v[22:23], v[158:159], v[22:23]
	v_mul_f64 v[158:159], v[138:139], s[28:29]
	v_add_f64 v[14:15], v[162:163], v[14:15]
	v_fma_f64 v[162:163], s[18:19], v[6:7], v[160:161]
	v_fma_f64 v[160:161], v[4:5], s[22:23], -v[158:159]
	v_add_f64 v[24:25], v[160:161], v[24:25]
	v_mul_f64 v[160:161], v[136:137], s[28:29]
	v_fmac_f64_e32 v[158:159], s[22:23], v[4:5]
	v_add_f64 v[12:13], v[162:163], v[12:13]
	v_fma_f64 v[162:163], s[22:23], v[6:7], v[160:161]
	v_add_f64 v[26:27], v[158:159], v[26:27]
	v_fma_f64 v[158:159], v[6:7], s[22:23], -v[160:161]
	v_mul_f64 v[160:161], v[138:139], s[34:35]
	v_add_f64 v[28:29], v[162:163], v[28:29]
	v_fma_f64 v[162:163], v[4:5], s[30:31], -v[160:161]
	v_mul_f64 v[164:165], v[136:137], s[34:35]
	v_fmac_f64_e32 v[160:161], s[30:31], v[4:5]
	v_add_f64 v[158:159], v[158:159], v[166:167]
	v_fma_f64 v[166:167], s[30:31], v[6:7], v[164:165]
	v_add_f64 v[30:31], v[160:161], v[30:31]
	v_fma_f64 v[160:161], v[6:7], s[30:31], -v[164:165]
	v_mul_f64 v[164:165], v[138:139], s[52:53]
	v_add_f64 v[160:161], v[160:161], v[168:169]
	v_fma_f64 v[168:169], v[4:5], s[12:13], -v[164:165]
	v_fmac_f64_e32 v[164:165], s[12:13], v[4:5]
	v_add_f64 v[162:163], v[162:163], v[170:171]
	v_mul_f64 v[170:171], v[136:137], s[52:53]
	v_add_f64 v[164:165], v[164:165], v[172:173]
	v_mul_f64 v[172:173], v[138:139], s[44:45]
	v_add_f64 v[166:167], v[166:167], v[174:175]
	v_add_f64 v[168:169], v[168:169], v[176:177]
	v_fma_f64 v[174:175], s[12:13], v[6:7], v[170:171]
	v_fma_f64 v[170:171], v[6:7], s[12:13], -v[170:171]
	v_fma_f64 v[176:177], v[4:5], s[16:17], -v[172:173]
	v_fmac_f64_e32 v[172:173], s[16:17], v[4:5]
	v_add_f64 v[170:171], v[170:171], v[178:179]
	v_mul_f64 v[178:179], v[136:137], s[44:45]
	v_add_f64 v[172:173], v[172:173], v[180:181]
	v_mul_f64 v[180:181], v[138:139], s[40:41]
	v_add_f64 v[174:175], v[174:175], v[182:183]
	v_add_f64 v[176:177], v[176:177], v[184:185]
	v_fma_f64 v[182:183], s[16:17], v[6:7], v[178:179]
	v_fma_f64 v[178:179], v[6:7], s[16:17], -v[178:179]
	v_fma_f64 v[184:185], v[4:5], s[38:39], -v[180:181]
	v_fmac_f64_e32 v[180:181], s[38:39], v[4:5]
	v_mul_f64 v[138:139], v[138:139], s[42:43]
	v_add_f64 v[178:179], v[178:179], v[186:187]
	v_mul_f64 v[186:187], v[136:137], s[40:41]
	v_add_f64 v[180:181], v[180:181], v[188:189]
	v_fma_f64 v[188:189], v[4:5], s[14:15], -v[138:139]
	v_mul_f64 v[136:137], v[136:137], s[42:43]
	v_fmac_f64_e32 v[138:139], s[14:15], v[4:5]
	v_add_f64 v[2:3], v[138:139], v[2:3]
	v_fma_f64 v[4:5], v[6:7], s[14:15], -v[136:137]
	v_add_f64 v[138:139], v[152:153], -v[156:157]
	v_add_f64 v[184:185], v[184:185], v[192:193]
	v_fma_f64 v[192:193], s[14:15], v[6:7], v[136:137]
	v_add_f64 v[0:1], v[4:5], v[0:1]
	v_add_f64 v[4:5], v[150:151], v[154:155]
	v_add_f64 v[136:137], v[150:151], -v[154:155]
	v_mul_f64 v[150:151], v[138:139], s[34:35]
	v_add_f64 v[182:183], v[182:183], v[190:191]
	v_fma_f64 v[190:191], s[38:39], v[6:7], v[186:187]
	v_fma_f64 v[186:187], v[6:7], s[38:39], -v[186:187]
	v_add_f64 v[6:7], v[152:153], v[156:157]
	v_fma_f64 v[152:153], v[4:5], s[30:31], -v[150:151]
	v_add_f64 v[10:11], v[152:153], v[10:11]
	v_mul_f64 v[152:153], v[136:137], s[34:35]
	v_fmac_f64_e32 v[150:151], s[30:31], v[4:5]
	v_add_f64 v[8:9], v[150:151], v[8:9]
	v_fma_f64 v[150:151], v[6:7], s[30:31], -v[152:153]
	v_add_f64 v[16:17], v[150:151], v[16:17]
	v_mul_f64 v[150:151], v[138:139], s[42:43]
	v_fma_f64 v[154:155], s[30:31], v[6:7], v[152:153]
	v_fma_f64 v[152:153], v[4:5], s[14:15], -v[150:151]
	v_add_f64 v[18:19], v[152:153], v[18:19]
	v_mul_f64 v[152:153], v[136:137], s[42:43]
	v_fmac_f64_e32 v[150:151], s[14:15], v[4:5]
	v_add_f64 v[20:21], v[150:151], v[20:21]
	v_fma_f64 v[150:151], v[6:7], s[14:15], -v[152:153]
	v_add_f64 v[22:23], v[150:151], v[22:23]
	v_mul_f64 v[150:151], v[138:139], s[36:37]
	v_add_f64 v[14:15], v[154:155], v[14:15]
	v_fma_f64 v[154:155], s[14:15], v[6:7], v[152:153]
	v_fma_f64 v[152:153], v[4:5], s[12:13], -v[150:151]
	v_add_f64 v[24:25], v[152:153], v[24:25]
	v_mul_f64 v[152:153], v[136:137], s[36:37]
	v_fmac_f64_e32 v[150:151], s[12:13], v[4:5]
	v_add_f64 v[26:27], v[150:151], v[26:27]
	v_fma_f64 v[150:151], v[6:7], s[12:13], -v[152:153]
	v_add_f64 v[156:157], v[150:151], v[158:159]
	v_mul_f64 v[150:151], v[138:139], s[58:59]
	v_add_f64 v[12:13], v[154:155], v[12:13]
	v_fma_f64 v[154:155], s[12:13], v[6:7], v[152:153]
	v_fma_f64 v[152:153], v[4:5], s[24:25], -v[150:151]
	v_add_f64 v[158:159], v[152:153], v[162:163]
	v_mul_f64 v[152:153], v[136:137], s[58:59]
	v_fmac_f64_e32 v[150:151], s[24:25], v[4:5]
	v_add_f64 v[28:29], v[154:155], v[28:29]
	v_fma_f64 v[154:155], s[24:25], v[6:7], v[152:153]
	v_add_f64 v[30:31], v[150:151], v[30:31]
	v_fma_f64 v[150:151], v[6:7], s[24:25], -v[152:153]
	v_add_f64 v[162:163], v[154:155], v[166:167]
	v_add_f64 v[166:167], v[150:151], v[160:161]
	v_mul_f64 v[150:151], v[138:139], s[28:29]
	v_fma_f64 v[152:153], v[4:5], s[22:23], -v[150:151]
	v_add_f64 v[226:227], v[236:237], v[226:227]
	v_add_f64 v[196:197], v[196:197], v[204:205]
	;; [unrolled: 1-line block ×3, first 2 shown]
	v_mul_f64 v[152:153], v[136:137], s[28:29]
	v_fmac_f64_e32 v[150:151], s[22:23], v[4:5]
	v_add_f64 v[224:225], v[224:225], v[230:231]
	v_add_f64 v[218:219], v[218:219], v[226:227]
	;; [unrolled: 1-line block ×4, first 2 shown]
	v_fma_f64 v[150:151], v[6:7], s[22:23], -v[152:153]
	v_add_f64 v[216:217], v[216:217], v[224:225]
	v_add_f64 v[206:207], v[206:207], v[218:219]
	;; [unrolled: 1-line block ×3, first 2 shown]
	v_mul_f64 v[150:151], v[138:139], s[40:41]
	v_add_f64 v[220:221], v[220:221], v[228:229]
	v_add_f64 v[210:211], v[210:211], v[216:217]
	;; [unrolled: 1-line block ×3, first 2 shown]
	v_fma_f64 v[154:155], s[22:23], v[6:7], v[152:153]
	v_fma_f64 v[152:153], v[4:5], s[38:39], -v[150:151]
	v_add_f64 v[212:213], v[212:213], v[220:221]
	v_add_f64 v[200:201], v[200:201], v[210:211]
	;; [unrolled: 1-line block ×4, first 2 shown]
	v_mul_f64 v[152:153], v[136:137], s[40:41]
	v_fmac_f64_e32 v[150:151], s[38:39], v[4:5]
	v_add_f64 v[202:203], v[202:203], v[212:213]
	v_add_f64 v[192:193], v[192:193], v[200:201]
	;; [unrolled: 1-line block ×3, first 2 shown]
	v_fma_f64 v[150:151], v[6:7], s[38:39], -v[152:153]
	v_add_f64 v[194:195], v[194:195], v[202:203]
	v_add_f64 v[202:203], v[150:151], v[178:179]
	v_mul_f64 v[150:151], v[138:139], s[48:49]
	v_add_f64 v[186:187], v[186:187], v[194:195]
	v_add_f64 v[194:195], v[154:155], v[174:175]
	v_fma_f64 v[154:155], s[38:39], v[6:7], v[152:153]
	v_fma_f64 v[152:153], v[4:5], s[16:17], -v[150:151]
	v_add_f64 v[204:205], v[152:153], v[184:185]
	v_mul_f64 v[152:153], v[136:137], s[48:49]
	v_fmac_f64_e32 v[150:151], s[16:17], v[4:5]
	v_add_f64 v[206:207], v[150:151], v[180:181]
	v_fma_f64 v[150:151], v[6:7], s[16:17], -v[152:153]
	v_mul_f64 v[138:139], v[138:139], s[20:21]
	v_mul_f64 v[136:137], v[136:137], s[20:21]
	v_add_f64 v[210:211], v[150:151], v[186:187]
	v_fma_f64 v[150:151], v[4:5], s[18:19], -v[138:139]
	v_fmac_f64_e32 v[138:139], s[18:19], v[4:5]
	v_fma_f64 v[4:5], v[6:7], s[18:19], -v[136:137]
	v_add_f64 v[218:219], v[144:145], -v[148:149]
	v_add_f64 v[0:1], v[4:5], v[0:1]
	v_add_f64 v[4:5], v[142:143], v[146:147]
	v_add_f64 v[216:217], v[142:143], -v[146:147]
	v_mul_f64 v[142:143], v[218:219], s[40:41]
	v_add_f64 v[212:213], v[150:151], v[188:189]
	v_fma_f64 v[150:151], s[18:19], v[6:7], v[136:137]
	v_fma_f64 v[136:137], v[4:5], s[38:39], -v[142:143]
	v_add_f64 v[182:183], v[154:155], v[182:183]
	v_fma_f64 v[154:155], s[16:17], v[6:7], v[152:153]
	v_add_f64 v[6:7], v[144:145], v[148:149]
	v_add_f64 v[136:137], v[136:137], v[10:11]
	v_mul_f64 v[10:11], v[216:217], s[40:41]
	v_fmac_f64_e32 v[142:143], s[38:39], v[4:5]
	v_add_f64 v[172:173], v[142:143], v[8:9]
	v_fma_f64 v[8:9], v[6:7], s[38:39], -v[10:11]
	v_add_f64 v[174:175], v[8:9], v[16:17]
	v_mul_f64 v[8:9], v[218:219], s[46:47]
	v_add_f64 v[2:3], v[138:139], v[2:3]
	v_fma_f64 v[138:139], s[38:39], v[6:7], v[10:11]
	v_fma_f64 v[10:11], v[4:5], s[22:23], -v[8:9]
	v_add_f64 v[142:143], v[10:11], v[18:19]
	v_mul_f64 v[10:11], v[216:217], s[46:47]
	v_fmac_f64_e32 v[8:9], s[22:23], v[4:5]
	v_add_f64 v[146:147], v[8:9], v[20:21]
	v_fma_f64 v[8:9], v[6:7], s[22:23], -v[10:11]
	v_add_f64 v[148:149], v[8:9], v[22:23]
	v_mul_f64 v[8:9], v[218:219], s[34:35]
	v_add_f64 v[138:139], v[138:139], v[14:15]
	v_fma_f64 v[14:15], s[22:23], v[6:7], v[10:11]
	v_fma_f64 v[10:11], v[4:5], s[30:31], -v[8:9]
	v_add_f64 v[214:215], v[150:151], v[192:193]
	v_add_f64 v[150:151], v[10:11], v[24:25]
	v_mul_f64 v[10:11], v[216:217], s[34:35]
	v_fmac_f64_e32 v[8:9], s[30:31], v[4:5]
	v_add_f64 v[190:191], v[154:155], v[190:191]
	v_add_f64 v[154:155], v[8:9], v[26:27]
	v_fma_f64 v[8:9], v[6:7], s[30:31], -v[10:11]
	v_add_f64 v[156:157], v[8:9], v[156:157]
	v_mul_f64 v[8:9], v[218:219], s[48:49]
	v_add_f64 v[144:145], v[14:15], v[12:13]
	v_fma_f64 v[12:13], s[30:31], v[6:7], v[10:11]
	v_fma_f64 v[10:11], v[4:5], s[16:17], -v[8:9]
	v_add_f64 v[158:159], v[10:11], v[158:159]
	v_mul_f64 v[10:11], v[216:217], s[48:49]
	v_add_f64 v[152:153], v[12:13], v[28:29]
	v_fma_f64 v[12:13], s[16:17], v[6:7], v[10:11]
	v_fmac_f64_e32 v[8:9], s[16:17], v[4:5]
	v_add_f64 v[160:161], v[12:13], v[162:163]
	v_add_f64 v[162:163], v[8:9], v[30:31]
	v_fma_f64 v[8:9], v[6:7], s[16:17], -v[10:11]
	v_add_f64 v[164:165], v[8:9], v[166:167]
	v_mul_f64 v[8:9], v[218:219], s[26:27]
	v_fma_f64 v[10:11], v[4:5], s[24:25], -v[8:9]
	v_add_f64 v[166:167], v[10:11], v[168:169]
	v_mul_f64 v[10:11], v[216:217], s[26:27]
	v_fmac_f64_e32 v[8:9], s[24:25], v[4:5]
	v_add_f64 v[176:177], v[8:9], v[196:197]
	v_fma_f64 v[8:9], v[6:7], s[24:25], -v[10:11]
	v_add_f64 v[178:179], v[8:9], v[170:171]
	v_mul_f64 v[8:9], v[218:219], s[42:43]
	v_fma_f64 v[12:13], s[24:25], v[6:7], v[10:11]
	v_fma_f64 v[10:11], v[4:5], s[14:15], -v[8:9]
	v_add_f64 v[180:181], v[10:11], v[198:199]
	v_mul_f64 v[10:11], v[216:217], s[42:43]
	v_fmac_f64_e32 v[8:9], s[14:15], v[4:5]
	v_add_f64 v[184:185], v[8:9], v[200:201]
	v_fma_f64 v[8:9], v[6:7], s[14:15], -v[10:11]
	v_add_f64 v[186:187], v[8:9], v[202:203]
	v_mul_f64 v[8:9], v[218:219], s[20:21]
	v_add_f64 v[168:169], v[12:13], v[194:195]
	v_fma_f64 v[12:13], s[14:15], v[6:7], v[10:11]
	v_fma_f64 v[10:11], v[4:5], s[18:19], -v[8:9]
	v_add_f64 v[188:189], v[10:11], v[204:205]
	v_mul_f64 v[10:11], v[216:217], s[20:21]
	v_fmac_f64_e32 v[8:9], s[18:19], v[4:5]
	v_add_f64 v[192:193], v[8:9], v[206:207]
	v_fma_f64 v[8:9], v[6:7], s[18:19], -v[10:11]
	v_add_f64 v[194:195], v[8:9], v[210:211]
	v_mul_f64 v[8:9], v[218:219], s[52:53]
	v_add_f64 v[182:183], v[12:13], v[182:183]
	v_fma_f64 v[12:13], s[18:19], v[6:7], v[10:11]
	v_fma_f64 v[10:11], v[4:5], s[12:13], -v[8:9]
	v_add_f64 v[196:197], v[10:11], v[212:213]
	v_mul_f64 v[10:11], v[216:217], s[52:53]
	v_fmac_f64_e32 v[8:9], s[12:13], v[4:5]
	v_add_f64 v[200:201], v[8:9], v[2:3]
	v_fma_f64 v[2:3], v[6:7], s[12:13], -v[10:11]
	s_load_dwordx2 s[2:3], s[0:1], 0x38
	v_add_f64 v[202:203], v[2:3], v[0:1]
	v_mov_b32_e32 v0, 0x121
	v_cmp_lt_u16_e64 s[0:1], 16, v232
	v_add_f64 v[190:191], v[12:13], v[190:191]
	v_fma_f64 v[12:13], s[12:13], v[6:7], v[10:11]
	v_cndmask_b32_e64 v0, 0, v0, s[0:1]
	v_add_u32_e32 v0, v140, v0
	v_add_f64 v[198:199], v[12:13], v[214:215]
	v_lshl_add_u32 v249, v0, 4, v250
	ds_write_b128 v249, v[132:135]
	ds_write_b128 v249, v[136:139] offset:272
	ds_write_b128 v249, v[142:145] offset:544
	;; [unrolled: 1-line block ×16, first 2 shown]
	s_waitcnt lgkmcnt(0)
	s_barrier
	ds_read_b128 v[200:203], v235
	ds_read_b128 v[196:199], v235 offset:544
	ds_read_b128 v[140:143], v235 offset:4624
	;; [unrolled: 1-line block ×15, first 2 shown]
	s_mov_b64 s[0:1], 0x110
	v_lshl_add_u64 v[132:133], v[232:233], 0, s[0:1]
                                        ; implicit-def: $vgpr204_vgpr205
	s_and_saveexec_b64 s[0:1], vcc
	s_cbranch_execz .LBB0_3
; %bb.2:
	ds_read_b128 v[172:175], v235 offset:4352
	ds_read_b128 v[204:207], v235 offset:8976
	v_mov_b64_e32 v[208:209], v[132:133]
.LBB0_3:
	s_or_b64 exec, exec, s[0:1]
	v_lshlrev_b32_e32 v0, 4, v132
	global_load_dwordx4 v[132:135], v0, s[10:11]
	v_lshlrev_b32_e32 v210, 4, v232
	v_mov_b32_e32 v211, 0
	v_lshl_add_u32 v233, v232, 4, v250
	s_waitcnt vmcnt(0) lgkmcnt(13)
	v_mul_f64 v[0:1], v[142:143], v[134:135]
	v_fma_f64 v[246:247], v[140:141], v[132:133], -v[0:1]
	v_lshl_add_u64 v[0:1], s[10:11], 0, v[210:211]
	v_add_co_u32_e64 v0, s[0:1], s33, v0
	v_mul_f64 v[244:245], v[140:141], v[134:135]
	s_nop 0
	v_addc_co_u32_e64 v1, s[0:1], 0, v1, s[0:1]
	v_fmac_f64_e32 v[244:245], v[142:143], v[132:133]
	global_load_dwordx4 v[140:143], v[0:1], off offset:800
	v_add_f64 v[252:253], v[200:201], -v[246:247]
	v_add_f64 v[254:255], v[202:203], -v[244:245]
	v_fma_f64 v[200:201], v[200:201], 2.0, -v[252:253]
	v_fma_f64 v[202:203], v[202:203], 2.0, -v[254:255]
	ds_write_b128 v235, v[200:203]
	s_waitcnt vmcnt(0) lgkmcnt(13)
	v_mul_f64 v[2:3], v[146:147], v[142:143]
	v_mul_f64 v[240:241], v[144:145], v[142:143]
	v_fma_f64 v[242:243], v[144:145], v[140:141], -v[2:3]
	v_fmac_f64_e32 v[240:241], v[146:147], v[140:141]
	global_load_dwordx4 v[144:147], v[0:1], off offset:1344
	v_add_f64 v[242:243], v[196:197], -v[242:243]
	v_add_f64 v[244:245], v[198:199], -v[240:241]
	v_fma_f64 v[196:197], v[196:197], 2.0, -v[242:243]
	v_fma_f64 v[198:199], v[198:199], 2.0, -v[244:245]
	s_waitcnt vmcnt(0) lgkmcnt(10)
	v_mul_f64 v[2:3], v[150:151], v[146:147]
	v_mul_f64 v[236:237], v[148:149], v[146:147]
	v_fma_f64 v[238:239], v[148:149], v[144:145], -v[2:3]
	v_fmac_f64_e32 v[236:237], v[150:151], v[144:145]
	global_load_dwordx4 v[148:151], v[0:1], off offset:1888
	v_add_f64 v[238:239], v[192:193], -v[238:239]
	v_add_f64 v[240:241], v[194:195], -v[236:237]
	v_fma_f64 v[192:193], v[192:193], 2.0, -v[238:239]
	v_fma_f64 v[194:195], v[194:195], 2.0, -v[240:241]
	s_waitcnt vmcnt(0) lgkmcnt(9)
	v_mul_f64 v[2:3], v[154:155], v[150:151]
	v_mul_f64 v[228:229], v[152:153], v[150:151]
	v_fma_f64 v[230:231], v[152:153], v[148:149], -v[2:3]
	v_fmac_f64_e32 v[228:229], v[154:155], v[148:149]
	global_load_dwordx4 v[152:155], v[0:1], off offset:2432
	s_waitcnt vmcnt(0) lgkmcnt(6)
	v_mul_f64 v[2:3], v[158:159], v[154:155]
	v_mul_f64 v[224:225], v[156:157], v[154:155]
	v_fma_f64 v[226:227], v[156:157], v[152:153], -v[2:3]
	v_fmac_f64_e32 v[224:225], v[158:159], v[152:153]
	global_load_dwordx4 v[156:159], v[0:1], off offset:2976
	v_add_f64 v[226:227], v[184:185], -v[226:227]
	v_fma_f64 v[184:185], v[184:185], 2.0, -v[226:227]
	s_waitcnt vmcnt(0) lgkmcnt(5)
	v_mul_f64 v[2:3], v[162:163], v[158:159]
	v_mul_f64 v[220:221], v[160:161], v[158:159]
	v_fma_f64 v[222:223], v[160:161], v[156:157], -v[2:3]
	v_fmac_f64_e32 v[220:221], v[162:163], v[156:157]
	global_load_dwordx4 v[160:163], v[0:1], off offset:3520
	v_add_f64 v[222:223], v[180:181], -v[222:223]
	v_fma_f64 v[180:181], v[180:181], 2.0, -v[222:223]
	s_waitcnt vmcnt(0) lgkmcnt(2)
	v_mul_f64 v[2:3], v[166:167], v[162:163]
	v_mul_f64 v[216:217], v[164:165], v[162:163]
	v_fma_f64 v[218:219], v[164:165], v[160:161], -v[2:3]
	v_fmac_f64_e32 v[216:217], v[166:167], v[160:161]
	global_load_dwordx4 v[164:167], v[0:1], off offset:4064
	v_add_f64 v[2:3], v[190:191], -v[228:229]
	v_add_f64 v[228:229], v[186:187], -v[224:225]
	v_add_f64 v[224:225], v[182:183], -v[220:221]
	v_add_f64 v[220:221], v[178:179], -v[216:217]
	v_add_f64 v[218:219], v[176:177], -v[218:219]
	v_fma_f64 v[190:191], v[190:191], 2.0, -v[2:3]
	v_fma_f64 v[186:187], v[186:187], 2.0, -v[228:229]
	;; [unrolled: 1-line block ×5, first 2 shown]
	s_waitcnt vmcnt(0) lgkmcnt(1)
	v_mul_f64 v[0:1], v[138:139], v[166:167]
	v_fma_f64 v[214:215], v[136:137], v[164:165], -v[0:1]
	v_lshl_add_u64 v[0:1], v[208:209], 4, s[10:11]
	v_add_co_u32_e64 v0, s[0:1], s33, v0
	v_mul_f64 v[212:213], v[136:137], v[166:167]
	s_nop 0
	v_addc_co_u32_e64 v1, s[0:1], 0, v1, s[0:1]
	v_fmac_f64_e32 v[212:213], v[138:139], v[164:165]
	global_load_dwordx4 v[136:139], v[0:1], off offset:256
	v_add_f64 v[214:215], v[168:169], -v[214:215]
	v_add_f64 v[216:217], v[170:171], -v[212:213]
	v_fma_f64 v[4:5], v[168:169], 2.0, -v[214:215]
	v_fma_f64 v[6:7], v[170:171], 2.0, -v[216:217]
	s_waitcnt vmcnt(0)
	v_mul_f64 v[0:1], v[206:207], v[138:139]
	v_fma_f64 v[208:209], v[204:205], v[136:137], -v[0:1]
	v_mul_f64 v[204:205], v[204:205], v[138:139]
	v_fmac_f64_e32 v[204:205], v[206:207], v[136:137]
	v_add_f64 v[0:1], v[188:189], -v[230:231]
	v_add_f64 v[168:169], v[172:173], -v[208:209]
	;; [unrolled: 1-line block ×3, first 2 shown]
	v_fma_f64 v[188:189], v[188:189], 2.0, -v[0:1]
	ds_write_b128 v233, v[252:255] offset:4624
	ds_write_b128 v235, v[196:199] offset:544
	;; [unrolled: 1-line block ×15, first 2 shown]
	s_and_saveexec_b64 s[0:1], vcc
	s_cbranch_execz .LBB0_5
; %bb.4:
	v_fma_f64 v[2:3], v[174:175], 2.0, -v[170:171]
	v_fma_f64 v[0:1], v[172:173], 2.0, -v[168:169]
	ds_write_b128 v235, v[0:3] offset:4352
	ds_write_b128 v233, v[168:171] offset:8976
.LBB0_5:
	s_or_b64 exec, exec, s[0:1]
	v_lshl_add_u64 v[236:237], s[8:9], 0, v[210:211]
	s_movk_i32 s0, 0x2000
	v_add_co_u32_e64 v0, s[0:1], s0, v236
	s_waitcnt lgkmcnt(0)
	s_nop 0
	v_addc_co_u32_e64 v1, s[0:1], 0, v237, s[0:1]
	s_barrier
	s_mov_b64 s[8:9], 0x2420
	global_load_dwordx4 v[172:175], v[0:1], off offset:1056
	v_lshl_add_u64 v[0:1], v[236:237], 0, s[8:9]
	global_load_dwordx4 v[176:179], v[0:1], off offset:544
	global_load_dwordx4 v[184:187], v[0:1], off offset:1088
	;; [unrolled: 1-line block ×7, first 2 shown]
	s_movk_i32 s0, 0x3000
	v_add_co_u32_e64 v16, s[0:1], s0, v236
	s_mov_b32 s28, 0x370991
	s_nop 0
	v_addc_co_u32_e64 v17, s[0:1], 0, v237, s[0:1]
	global_load_dwordx4 v[188:191], v[16:17], off offset:1312
	global_load_dwordx4 v[196:199], v[16:17], off offset:1856
	;; [unrolled: 1-line block ×4, first 2 shown]
	ds_read_b128 v[0:3], v235
	ds_read_b128 v[4:7], v235 offset:544
	ds_read_b128 v[238:241], v235 offset:1088
	;; [unrolled: 1-line block ×3, first 2 shown]
	global_load_dwordx4 v[220:223], v[16:17], off offset:3488
	ds_read_b128 v[250:253], v235 offset:2176
	ds_read_b128 v[8:11], v235 offset:2720
	;; [unrolled: 1-line block ×4, first 2 shown]
	global_load_dwordx4 v[224:227], v[16:17], off offset:4032
	s_movk_i32 s0, 0x4000
	v_add_co_u32_e64 v24, s[0:1], s0, v236
	s_mov_b32 s20, 0x75d4884
	s_nop 0
	v_addc_co_u32_e64 v25, s[0:1], 0, v237, s[0:1]
	global_load_dwordx4 v[16:19], v[24:25], off offset:480
	global_load_dwordx4 v[20:23], v[24:25], off offset:1024
	s_nop 0
	global_load_dwordx4 v[24:27], v[24:25], off offset:1568
	s_mov_b32 s8, 0x3259b75e
	s_mov_b32 s30, 0xc61f0d01
	;; [unrolled: 1-line block ×44, first 2 shown]
	s_waitcnt vmcnt(15) lgkmcnt(6)
	v_mul_f64 v[236:237], v[6:7], v[178:179]
	s_waitcnt vmcnt(14) lgkmcnt(5)
	v_mul_f64 v[246:247], v[240:241], v[186:187]
	;; [unrolled: 2-line block ×4, first 2 shown]
	v_mul_f64 v[28:29], v[2:3], v[174:175]
	v_mul_f64 v[30:31], v[0:1], v[174:175]
	;; [unrolled: 1-line block ×6, first 2 shown]
	s_waitcnt vmcnt(11) lgkmcnt(2)
	v_mul_f64 v[34:35], v[10:11], v[210:211]
	v_mul_f64 v[202:203], v[8:9], v[210:211]
	s_waitcnt vmcnt(10) lgkmcnt(1)
	v_mul_f64 v[36:37], v[14:15], v[218:219]
	v_mul_f64 v[210:211], v[12:13], v[218:219]
	v_fma_f64 v[28:29], v[0:1], v[172:173], -v[28:29]
	v_fmac_f64_e32 v[30:31], v[2:3], v[172:173]
	v_fma_f64 v[172:173], v[4:5], v[176:177], -v[236:237]
	v_fmac_f64_e32 v[174:175], v[6:7], v[176:177]
	;; [unrolled: 2-line block ×7, first 2 shown]
	ds_write_b128 v235, v[28:31]
	ds_write_b128 v235, v[172:175] offset:544
	ds_write_b128 v235, v[176:179] offset:1088
	;; [unrolled: 1-line block ×6, first 2 shown]
	ds_read_b128 v[4:7], v235 offset:4352
	s_waitcnt vmcnt(9) lgkmcnt(8)
	v_mul_f64 v[38:39], v[230:231], v[182:183]
	v_mul_f64 v[2:3], v[228:229], v[182:183]
	v_fma_f64 v[0:1], v[228:229], v[180:181], -v[38:39]
	v_fmac_f64_e32 v[2:3], v[230:231], v[180:181]
	ds_write_b128 v235, v[0:3] offset:3808
	ds_read_b128 v[0:3], v235 offset:4896
	s_waitcnt vmcnt(8) lgkmcnt(2)
	v_mul_f64 v[8:9], v[6:7], v[190:191]
	v_mul_f64 v[10:11], v[4:5], v[190:191]
	v_fma_f64 v[8:9], v[4:5], v[188:189], -v[8:9]
	v_fmac_f64_e32 v[10:11], v[6:7], v[188:189]
	ds_write_b128 v235, v[8:11] offset:4352
	ds_read_b128 v[8:11], v235 offset:5440
	s_waitcnt vmcnt(7) lgkmcnt(2)
	v_mul_f64 v[4:5], v[2:3], v[198:199]
	v_mul_f64 v[6:7], v[0:1], v[198:199]
	v_fma_f64 v[4:5], v[0:1], v[196:197], -v[4:5]
	v_fmac_f64_e32 v[6:7], v[2:3], v[196:197]
	ds_read_b128 v[0:3], v235 offset:5984
	ds_write_b128 v235, v[4:7] offset:4896
	s_waitcnt vmcnt(6) lgkmcnt(2)
	v_mul_f64 v[4:5], v[10:11], v[206:207]
	v_mul_f64 v[6:7], v[8:9], v[206:207]
	v_fma_f64 v[4:5], v[8:9], v[204:205], -v[4:5]
	v_fmac_f64_e32 v[6:7], v[10:11], v[204:205]
	ds_read_b128 v[8:11], v235 offset:6528
	ds_write_b128 v235, v[4:7] offset:5440
	;; [unrolled: 7-line block ×5, first 2 shown]
	s_waitcnt vmcnt(2) lgkmcnt(3)
	v_mul_f64 v[4:5], v[10:11], v[18:19]
	v_mul_f64 v[6:7], v[8:9], v[18:19]
	v_fma_f64 v[4:5], v[8:9], v[16:17], -v[4:5]
	v_fmac_f64_e32 v[6:7], v[10:11], v[16:17]
	ds_write_b128 v235, v[4:7] offset:7616
	ds_read_b128 v[4:7], v235 offset:8704
	s_waitcnt vmcnt(1) lgkmcnt(3)
	v_mul_f64 v[8:9], v[2:3], v[22:23]
	v_mul_f64 v[10:11], v[0:1], v[22:23]
	v_fma_f64 v[8:9], v[0:1], v[20:21], -v[8:9]
	v_fmac_f64_e32 v[10:11], v[2:3], v[20:21]
	s_waitcnt vmcnt(0) lgkmcnt(0)
	v_mul_f64 v[0:1], v[6:7], v[26:27]
	v_mul_f64 v[2:3], v[4:5], v[26:27]
	v_fma_f64 v[0:1], v[4:5], v[24:25], -v[0:1]
	v_fmac_f64_e32 v[2:3], v[6:7], v[24:25]
	ds_write_b128 v235, v[8:11] offset:8160
	ds_write_b128 v235, v[0:3] offset:8704
	s_waitcnt lgkmcnt(0)
	s_barrier
	ds_read_b128 v[220:223], v235
	ds_read_b128 v[0:3], v235 offset:544
	ds_read_b128 v[224:227], v235 offset:1088
	;; [unrolled: 1-line block ×16, first 2 shown]
	s_waitcnt lgkmcnt(14)
	v_add_f64 v[14:15], v[222:223], v[2:3]
	v_add_f64 v[12:13], v[220:221], v[0:1]
	;; [unrolled: 1-line block ×4, first 2 shown]
	s_waitcnt lgkmcnt(13)
	v_add_f64 v[14:15], v[14:15], v[218:219]
	v_add_f64 v[12:13], v[12:13], v[216:217]
	s_waitcnt lgkmcnt(12)
	v_add_f64 v[14:15], v[14:15], v[210:211]
	v_add_f64 v[12:13], v[12:13], v[208:209]
	;; [unrolled: 3-line block ×14, first 2 shown]
	v_add_f64 v[172:173], v[12:13], v[8:9]
	v_add_f64 v[12:13], v[0:1], v[8:9]
	v_add_f64 v[0:1], v[0:1], -v[8:9]
	v_add_f64 v[2:3], v[2:3], -v[10:11]
	v_mul_f64 v[16:17], v[14:15], s[28:29]
	v_mul_f64 v[24:25], v[14:15], s[20:21]
	;; [unrolled: 1-line block ×9, first 2 shown]
	v_fma_f64 v[40:41], s[42:43], v[0:1], v[254:255]
	v_fmac_f64_e32 v[254:255], s[38:39], v[0:1]
	v_fma_f64 v[52:53], s[54:55], v[0:1], v[14:15]
	v_fmac_f64_e32 v[14:15], s[50:51], v[0:1]
	v_mul_f64 v[8:9], v[2:3], s[26:27]
	v_fma_f64 v[18:19], s[34:35], v[0:1], v[16:17]
	v_fmac_f64_e32 v[16:17], s[26:27], v[0:1]
	v_mul_f64 v[20:21], v[2:3], s[18:19]
	;; [unrolled: 3-line block ×5, first 2 shown]
	v_fma_f64 v[246:247], s[36:37], v[0:1], v[244:245]
	v_fmac_f64_e32 v[244:245], s[24:25], v[0:1]
	v_fma_f64 v[252:253], s[40:41], v[12:13], v[250:251]
	v_fma_f64 v[42:43], v[12:13], s[40:41], -v[250:251]
	v_add_f64 v[250:251], v[222:223], v[254:255]
	v_mul_f64 v[254:255], v[2:3], s[44:45]
	v_fma_f64 v[48:49], s[48:49], v[0:1], v[46:47]
	v_fmac_f64_e32 v[46:47], s[44:45], v[0:1]
	v_mul_f64 v[2:3], v[2:3], s[50:51]
	v_add_f64 v[0:1], v[222:223], v[14:15]
	v_add_f64 v[14:15], v[226:227], v[6:7]
	v_add_f64 v[6:7], v[226:227], -v[6:7]
	v_fma_f64 v[10:11], s[28:29], v[12:13], v[8:9]
	v_fma_f64 v[8:9], v[12:13], s[28:29], -v[8:9]
	v_fma_f64 v[22:23], s[20:21], v[12:13], v[20:21]
	v_fma_f64 v[20:21], v[12:13], s[20:21], -v[20:21]
	;; [unrolled: 2-line block ×7, first 2 shown]
	v_add_f64 v[12:13], v[224:225], v[4:5]
	v_mul_f64 v[54:55], v[6:7], s[18:19]
	v_add_f64 v[10:11], v[220:221], v[10:11]
	v_add_f64 v[8:9], v[220:221], v[8:9]
	;; [unrolled: 1-line block ×16, first 2 shown]
	v_fma_f64 v[220:221], s[20:21], v[12:13], v[54:55]
	v_add_f64 v[4:5], v[224:225], -v[4:5]
	v_add_f64 v[10:11], v[220:221], v[10:11]
	v_mul_f64 v[220:221], v[14:15], s[20:21]
	v_fma_f64 v[54:55], v[12:13], s[20:21], -v[54:55]
	v_add_f64 v[18:19], v[222:223], v[18:19]
	v_add_f64 v[16:17], v[222:223], v[16:17]
	;; [unrolled: 1-line block ×14, first 2 shown]
	v_fma_f64 v[222:223], s[22:23], v[4:5], v[220:221]
	v_add_f64 v[8:9], v[54:55], v[8:9]
	v_fmac_f64_e32 v[220:221], s[18:19], v[4:5]
	v_mul_f64 v[54:55], v[6:7], s[0:1]
	v_add_f64 v[16:17], v[220:221], v[16:17]
	v_fma_f64 v[220:221], s[8:9], v[12:13], v[54:55]
	v_add_f64 v[22:23], v[220:221], v[22:23]
	v_mul_f64 v[220:221], v[14:15], s[8:9]
	v_fma_f64 v[54:55], v[12:13], s[8:9], -v[54:55]
	v_add_f64 v[18:19], v[222:223], v[18:19]
	v_fma_f64 v[222:223], s[10:11], v[4:5], v[220:221]
	v_add_f64 v[20:21], v[54:55], v[20:21]
	v_fmac_f64_e32 v[220:221], s[0:1], v[4:5]
	v_mul_f64 v[54:55], v[6:7], s[38:39]
	v_add_f64 v[24:25], v[220:221], v[24:25]
	v_fma_f64 v[220:221], s[40:41], v[12:13], v[54:55]
	v_add_f64 v[30:31], v[220:221], v[30:31]
	v_mul_f64 v[220:221], v[14:15], s[40:41]
	v_fma_f64 v[54:55], v[12:13], s[40:41], -v[54:55]
	v_add_f64 v[26:27], v[222:223], v[26:27]
	v_fma_f64 v[222:223], s[42:43], v[4:5], v[220:221]
	v_add_f64 v[28:29], v[54:55], v[28:29]
	v_fmac_f64_e32 v[220:221], s[38:39], v[4:5]
	v_mul_f64 v[54:55], v[6:7], s[50:51]
	v_add_f64 v[32:33], v[220:221], v[32:33]
	v_fma_f64 v[220:221], s[52:53], v[12:13], v[54:55]
	v_add_f64 v[38:39], v[220:221], v[38:39]
	v_mul_f64 v[220:221], v[14:15], s[52:53]
	v_add_f64 v[34:35], v[222:223], v[34:35]
	v_fma_f64 v[222:223], s[54:55], v[4:5], v[220:221]
	v_fma_f64 v[54:55], v[12:13], s[52:53], -v[54:55]
	v_fmac_f64_e32 v[220:221], s[50:51], v[4:5]
	v_add_f64 v[36:37], v[54:55], v[36:37]
	v_add_f64 v[54:55], v[220:221], v[236:237]
	v_mul_f64 v[220:221], v[6:7], s[48:49]
	v_fma_f64 v[224:225], s[46:47], v[12:13], v[220:221]
	v_mul_f64 v[226:227], v[14:15], s[46:47]
	v_add_f64 v[222:223], v[222:223], v[238:239]
	v_add_f64 v[224:225], v[224:225], v[242:243]
	v_fma_f64 v[236:237], s[44:45], v[4:5], v[226:227]
	v_fma_f64 v[220:221], v[12:13], s[46:47], -v[220:221]
	v_fmac_f64_e32 v[226:227], s[48:49], v[4:5]
	v_mul_f64 v[238:239], v[6:7], s[36:37]
	v_mul_f64 v[242:243], v[14:15], s[30:31]
	v_add_f64 v[220:221], v[220:221], v[240:241]
	v_add_f64 v[226:227], v[226:227], v[244:245]
	v_fma_f64 v[240:241], s[30:31], v[12:13], v[238:239]
	v_fma_f64 v[244:245], s[24:25], v[4:5], v[242:243]
	v_fma_f64 v[238:239], v[12:13], s[30:31], -v[238:239]
	v_fmac_f64_e32 v[242:243], s[36:37], v[4:5]
	v_add_f64 v[42:43], v[238:239], v[42:43]
	v_add_f64 v[238:239], v[242:243], v[250:251]
	v_mul_f64 v[242:243], v[6:7], s[16:17]
	v_add_f64 v[40:41], v[244:245], v[40:41]
	v_fma_f64 v[244:245], s[14:15], v[12:13], v[242:243]
	v_add_f64 v[44:45], v[244:245], v[44:45]
	v_mul_f64 v[244:245], v[14:15], s[14:15]
	v_add_f64 v[236:237], v[236:237], v[246:247]
	v_fma_f64 v[246:247], s[12:13], v[4:5], v[244:245]
	v_fmac_f64_e32 v[244:245], s[16:17], v[4:5]
	v_mul_f64 v[14:15], v[14:15], s[28:29]
	v_add_f64 v[46:47], v[244:245], v[46:47]
	v_fma_f64 v[244:245], s[26:27], v[4:5], v[14:15]
	v_fmac_f64_e32 v[14:15], s[34:35], v[4:5]
	v_fma_f64 v[242:243], v[12:13], s[14:15], -v[242:243]
	v_mul_f64 v[6:7], v[6:7], s[34:35]
	v_add_f64 v[0:1], v[14:15], v[0:1]
	v_add_f64 v[14:15], v[218:219], -v[230:231]
	v_add_f64 v[50:51], v[242:243], v[50:51]
	v_fma_f64 v[242:243], s[28:29], v[12:13], v[6:7]
	v_fma_f64 v[6:7], v[12:13], s[28:29], -v[6:7]
	v_add_f64 v[4:5], v[216:217], v[228:229]
	v_add_f64 v[12:13], v[216:217], -v[228:229]
	v_mul_f64 v[216:217], v[14:15], s[12:13]
	v_add_f64 v[2:3], v[6:7], v[2:3]
	v_add_f64 v[6:7], v[218:219], v[230:231]
	v_fma_f64 v[218:219], s[14:15], v[4:5], v[216:217]
	v_add_f64 v[10:11], v[218:219], v[10:11]
	v_mul_f64 v[218:219], v[6:7], s[14:15]
	v_fma_f64 v[216:217], v[4:5], s[14:15], -v[216:217]
	v_fma_f64 v[228:229], s[16:17], v[12:13], v[218:219]
	v_add_f64 v[8:9], v[216:217], v[8:9]
	v_fmac_f64_e32 v[218:219], s[12:13], v[12:13]
	v_mul_f64 v[216:217], v[14:15], s[38:39]
	v_add_f64 v[16:17], v[218:219], v[16:17]
	v_fma_f64 v[218:219], s[40:41], v[4:5], v[216:217]
	v_add_f64 v[22:23], v[218:219], v[22:23]
	v_mul_f64 v[218:219], v[6:7], s[40:41]
	v_fma_f64 v[216:217], v[4:5], s[40:41], -v[216:217]
	v_add_f64 v[18:19], v[228:229], v[18:19]
	v_fma_f64 v[228:229], s[42:43], v[12:13], v[218:219]
	v_add_f64 v[20:21], v[216:217], v[20:21]
	v_fmac_f64_e32 v[218:219], s[38:39], v[12:13]
	v_mul_f64 v[216:217], v[14:15], s[54:55]
	v_add_f64 v[24:25], v[218:219], v[24:25]
	v_fma_f64 v[218:219], s[52:53], v[4:5], v[216:217]
	v_add_f64 v[30:31], v[218:219], v[30:31]
	v_mul_f64 v[218:219], v[6:7], s[52:53]
	v_fma_f64 v[216:217], v[4:5], s[52:53], -v[216:217]
	v_add_f64 v[26:27], v[228:229], v[26:27]
	;; [unrolled: 10-line block ×3, first 2 shown]
	v_fma_f64 v[228:229], s[24:25], v[12:13], v[218:219]
	v_add_f64 v[36:37], v[216:217], v[36:37]
	v_fmac_f64_e32 v[218:219], s[36:37], v[12:13]
	v_mul_f64 v[216:217], v[14:15], s[22:23]
	v_add_f64 v[54:55], v[218:219], v[54:55]
	v_fma_f64 v[218:219], s[20:21], v[4:5], v[216:217]
	v_add_f64 v[218:219], v[218:219], v[224:225]
	v_mul_f64 v[224:225], v[6:7], s[20:21]
	v_add_f64 v[222:223], v[228:229], v[222:223]
	v_fma_f64 v[228:229], s[18:19], v[12:13], v[224:225]
	v_fma_f64 v[216:217], v[4:5], s[20:21], -v[216:217]
	v_fmac_f64_e32 v[224:225], s[22:23], v[12:13]
	v_add_f64 v[216:217], v[216:217], v[220:221]
	v_add_f64 v[220:221], v[224:225], v[226:227]
	v_mul_f64 v[224:225], v[14:15], s[26:27]
	v_mul_f64 v[230:231], v[6:7], s[28:29]
	v_add_f64 v[228:229], v[228:229], v[236:237]
	v_fma_f64 v[226:227], s[28:29], v[4:5], v[224:225]
	v_fma_f64 v[236:237], s[34:35], v[12:13], v[230:231]
	v_fma_f64 v[224:225], v[4:5], s[28:29], -v[224:225]
	v_fmac_f64_e32 v[230:231], s[26:27], v[12:13]
	v_add_f64 v[42:43], v[224:225], v[42:43]
	v_add_f64 v[224:225], v[230:231], v[238:239]
	v_mul_f64 v[230:231], v[14:15], s[0:1]
	v_add_f64 v[40:41], v[236:237], v[40:41]
	v_fma_f64 v[236:237], s[8:9], v[4:5], v[230:231]
	v_add_f64 v[44:45], v[236:237], v[44:45]
	v_mul_f64 v[236:237], v[6:7], s[8:9]
	v_fma_f64 v[230:231], v[4:5], s[8:9], -v[230:231]
	v_mul_f64 v[14:15], v[14:15], s[44:45]
	v_fma_f64 v[238:239], s[10:11], v[12:13], v[236:237]
	v_add_f64 v[50:51], v[230:231], v[50:51]
	v_fmac_f64_e32 v[236:237], s[0:1], v[12:13]
	v_fma_f64 v[230:231], s[46:47], v[4:5], v[14:15]
	v_mul_f64 v[6:7], v[6:7], s[46:47]
	v_fma_f64 v[4:5], v[4:5], s[46:47], -v[14:15]
	v_add_f64 v[14:15], v[210:211], -v[214:215]
	v_add_f64 v[46:47], v[236:237], v[46:47]
	v_fma_f64 v[236:237], s[48:49], v[12:13], v[6:7]
	v_add_f64 v[2:3], v[4:5], v[2:3]
	v_fmac_f64_e32 v[6:7], s[44:45], v[12:13]
	v_add_f64 v[4:5], v[208:209], v[212:213]
	v_add_f64 v[12:13], v[208:209], -v[212:213]
	v_mul_f64 v[208:209], v[14:15], s[0:1]
	v_add_f64 v[0:1], v[6:7], v[0:1]
	v_add_f64 v[6:7], v[210:211], v[214:215]
	v_fma_f64 v[210:211], s[8:9], v[4:5], v[208:209]
	v_add_f64 v[10:11], v[210:211], v[10:11]
	v_mul_f64 v[210:211], v[6:7], s[8:9]
	v_fma_f64 v[208:209], v[4:5], s[8:9], -v[208:209]
	v_fma_f64 v[212:213], s[10:11], v[12:13], v[210:211]
	v_add_f64 v[8:9], v[208:209], v[8:9]
	v_fmac_f64_e32 v[210:211], s[0:1], v[12:13]
	v_mul_f64 v[208:209], v[14:15], s[50:51]
	v_add_f64 v[16:17], v[210:211], v[16:17]
	v_fma_f64 v[210:211], s[52:53], v[4:5], v[208:209]
	v_add_f64 v[22:23], v[210:211], v[22:23]
	v_mul_f64 v[210:211], v[6:7], s[52:53]
	v_fma_f64 v[208:209], v[4:5], s[52:53], -v[208:209]
	v_add_f64 v[18:19], v[212:213], v[18:19]
	v_fma_f64 v[212:213], s[54:55], v[12:13], v[210:211]
	v_add_f64 v[20:21], v[208:209], v[20:21]
	v_fmac_f64_e32 v[210:211], s[50:51], v[12:13]
	v_mul_f64 v[208:209], v[14:15], s[36:37]
	v_add_f64 v[24:25], v[210:211], v[24:25]
	v_fma_f64 v[210:211], s[30:31], v[4:5], v[208:209]
	v_add_f64 v[30:31], v[210:211], v[30:31]
	v_mul_f64 v[210:211], v[6:7], s[30:31]
	v_fma_f64 v[208:209], v[4:5], s[30:31], -v[208:209]
	v_add_f64 v[26:27], v[212:213], v[26:27]
	;; [unrolled: 10-line block ×3, first 2 shown]
	v_fma_f64 v[212:213], s[26:27], v[12:13], v[210:211]
	v_add_f64 v[36:37], v[208:209], v[36:37]
	v_fmac_f64_e32 v[210:211], s[34:35], v[12:13]
	v_mul_f64 v[208:209], v[14:15], s[12:13]
	v_add_f64 v[54:55], v[210:211], v[54:55]
	v_fma_f64 v[210:211], s[14:15], v[4:5], v[208:209]
	v_mul_f64 v[214:215], v[6:7], s[14:15]
	v_fma_f64 v[208:209], v[4:5], s[14:15], -v[208:209]
	v_add_f64 v[240:241], v[240:241], v[252:253]
	v_add_f64 v[210:211], v[210:211], v[218:219]
	v_fma_f64 v[218:219], s[16:17], v[12:13], v[214:215]
	v_add_f64 v[208:209], v[208:209], v[216:217]
	v_fmac_f64_e32 v[214:215], s[12:13], v[12:13]
	v_mul_f64 v[216:217], v[14:15], s[44:45]
	v_add_f64 v[226:227], v[226:227], v[240:241]
	v_add_f64 v[212:213], v[212:213], v[222:223]
	;; [unrolled: 1-line block ×3, first 2 shown]
	v_fma_f64 v[220:221], s[46:47], v[4:5], v[216:217]
	v_mul_f64 v[222:223], v[6:7], s[46:47]
	v_add_f64 v[220:221], v[220:221], v[226:227]
	v_fma_f64 v[226:227], s[48:49], v[12:13], v[222:223]
	v_fma_f64 v[216:217], v[4:5], s[46:47], -v[216:217]
	v_fmac_f64_e32 v[222:223], s[44:45], v[12:13]
	v_add_f64 v[42:43], v[216:217], v[42:43]
	v_add_f64 v[216:217], v[222:223], v[224:225]
	v_mul_f64 v[222:223], v[14:15], s[42:43]
	v_fma_f64 v[224:225], s[40:41], v[4:5], v[222:223]
	v_add_f64 v[44:45], v[224:225], v[44:45]
	v_mul_f64 v[224:225], v[6:7], s[40:41]
	v_fma_f64 v[222:223], v[4:5], s[40:41], -v[222:223]
	v_mul_f64 v[14:15], v[14:15], s[22:23]
	v_add_f64 v[40:41], v[226:227], v[40:41]
	v_fma_f64 v[226:227], s[38:39], v[12:13], v[224:225]
	v_add_f64 v[50:51], v[222:223], v[50:51]
	v_fmac_f64_e32 v[224:225], s[42:43], v[12:13]
	v_fma_f64 v[222:223], s[20:21], v[4:5], v[14:15]
	v_mul_f64 v[6:7], v[6:7], s[20:21]
	v_fma_f64 v[4:5], v[4:5], s[20:21], -v[14:15]
	v_add_f64 v[14:15], v[202:203], -v[206:207]
	v_add_f64 v[46:47], v[224:225], v[46:47]
	v_fma_f64 v[224:225], s[18:19], v[12:13], v[6:7]
	v_add_f64 v[2:3], v[4:5], v[2:3]
	v_fmac_f64_e32 v[6:7], s[22:23], v[12:13]
	v_add_f64 v[4:5], v[200:201], v[204:205]
	v_add_f64 v[12:13], v[200:201], -v[204:205]
	v_mul_f64 v[200:201], v[14:15], s[24:25]
	v_add_f64 v[0:1], v[6:7], v[0:1]
	v_add_f64 v[6:7], v[202:203], v[206:207]
	v_fma_f64 v[202:203], s[30:31], v[4:5], v[200:201]
	v_add_f64 v[10:11], v[202:203], v[10:11]
	v_mul_f64 v[202:203], v[6:7], s[30:31]
	v_fma_f64 v[200:201], v[4:5], s[30:31], -v[200:201]
	v_fma_f64 v[204:205], s[36:37], v[12:13], v[202:203]
	v_add_f64 v[8:9], v[200:201], v[8:9]
	v_fmac_f64_e32 v[202:203], s[24:25], v[12:13]
	v_mul_f64 v[200:201], v[14:15], s[48:49]
	v_add_f64 v[16:17], v[202:203], v[16:17]
	v_fma_f64 v[202:203], s[46:47], v[4:5], v[200:201]
	v_add_f64 v[22:23], v[202:203], v[22:23]
	v_mul_f64 v[202:203], v[6:7], s[46:47]
	v_fma_f64 v[200:201], v[4:5], s[46:47], -v[200:201]
	v_add_f64 v[18:19], v[204:205], v[18:19]
	v_fma_f64 v[204:205], s[44:45], v[12:13], v[202:203]
	v_add_f64 v[20:21], v[200:201], v[20:21]
	v_fmac_f64_e32 v[202:203], s[48:49], v[12:13]
	v_mul_f64 v[200:201], v[14:15], s[22:23]
	v_add_f64 v[24:25], v[202:203], v[24:25]
	v_fma_f64 v[202:203], s[20:21], v[4:5], v[200:201]
	v_add_f64 v[30:31], v[202:203], v[30:31]
	v_mul_f64 v[202:203], v[6:7], s[20:21]
	v_fma_f64 v[200:201], v[4:5], s[20:21], -v[200:201]
	v_add_f64 v[26:27], v[204:205], v[26:27]
	;; [unrolled: 10-line block ×3, first 2 shown]
	v_fma_f64 v[204:205], s[16:17], v[12:13], v[202:203]
	v_add_f64 v[36:37], v[200:201], v[36:37]
	v_fmac_f64_e32 v[202:203], s[12:13], v[12:13]
	v_mul_f64 v[200:201], v[14:15], s[50:51]
	v_add_f64 v[54:55], v[202:203], v[54:55]
	v_fma_f64 v[202:203], s[52:53], v[4:5], v[200:201]
	v_mul_f64 v[206:207], v[6:7], s[52:53]
	v_add_f64 v[202:203], v[202:203], v[210:211]
	v_fma_f64 v[210:211], s[54:55], v[12:13], v[206:207]
	v_fma_f64 v[200:201], v[4:5], s[52:53], -v[200:201]
	v_fmac_f64_e32 v[206:207], s[50:51], v[12:13]
	v_add_f64 v[218:219], v[218:219], v[228:229]
	v_add_f64 v[200:201], v[200:201], v[208:209]
	;; [unrolled: 1-line block ×3, first 2 shown]
	v_mul_f64 v[208:209], v[14:15], s[10:11]
	v_mul_f64 v[214:215], v[6:7], s[8:9]
	v_add_f64 v[204:205], v[204:205], v[212:213]
	v_add_f64 v[210:211], v[210:211], v[218:219]
	v_fma_f64 v[212:213], s[8:9], v[4:5], v[208:209]
	v_fma_f64 v[218:219], s[0:1], v[12:13], v[214:215]
	v_fma_f64 v[208:209], v[4:5], s[8:9], -v[208:209]
	v_fmac_f64_e32 v[214:215], s[10:11], v[12:13]
	v_add_f64 v[42:43], v[208:209], v[42:43]
	v_add_f64 v[208:209], v[214:215], v[216:217]
	v_mul_f64 v[214:215], v[14:15], s[26:27]
	v_fma_f64 v[216:217], s[28:29], v[4:5], v[214:215]
	v_add_f64 v[44:45], v[216:217], v[44:45]
	v_mul_f64 v[216:217], v[6:7], s[28:29]
	v_fma_f64 v[214:215], v[4:5], s[28:29], -v[214:215]
	v_mul_f64 v[14:15], v[14:15], s[38:39]
	v_add_f64 v[40:41], v[218:219], v[40:41]
	v_fma_f64 v[218:219], s[34:35], v[12:13], v[216:217]
	v_add_f64 v[50:51], v[214:215], v[50:51]
	v_fmac_f64_e32 v[216:217], s[26:27], v[12:13]
	v_fma_f64 v[214:215], s[40:41], v[4:5], v[14:15]
	v_mul_f64 v[6:7], v[6:7], s[40:41]
	v_fma_f64 v[4:5], v[4:5], s[40:41], -v[14:15]
	v_add_f64 v[14:15], v[194:195], -v[198:199]
	v_add_f64 v[46:47], v[216:217], v[46:47]
	v_fma_f64 v[216:217], s[42:43], v[12:13], v[6:7]
	v_add_f64 v[2:3], v[4:5], v[2:3]
	v_fmac_f64_e32 v[6:7], s[38:39], v[12:13]
	v_add_f64 v[4:5], v[192:193], v[196:197]
	v_add_f64 v[12:13], v[192:193], -v[196:197]
	v_mul_f64 v[192:193], v[14:15], s[38:39]
	v_add_f64 v[0:1], v[6:7], v[0:1]
	v_add_f64 v[6:7], v[194:195], v[198:199]
	v_fma_f64 v[194:195], s[40:41], v[4:5], v[192:193]
	v_add_f64 v[10:11], v[194:195], v[10:11]
	v_mul_f64 v[194:195], v[6:7], s[40:41]
	v_fma_f64 v[192:193], v[4:5], s[40:41], -v[192:193]
	v_fma_f64 v[196:197], s[42:43], v[12:13], v[194:195]
	v_add_f64 v[8:9], v[192:193], v[8:9]
	v_fmac_f64_e32 v[194:195], s[38:39], v[12:13]
	v_mul_f64 v[192:193], v[14:15], s[36:37]
	v_add_f64 v[16:17], v[194:195], v[16:17]
	v_fma_f64 v[194:195], s[30:31], v[4:5], v[192:193]
	v_add_f64 v[22:23], v[194:195], v[22:23]
	v_mul_f64 v[194:195], v[6:7], s[30:31]
	v_fma_f64 v[192:193], v[4:5], s[30:31], -v[192:193]
	v_add_f64 v[18:19], v[196:197], v[18:19]
	v_fma_f64 v[196:197], s[24:25], v[12:13], v[194:195]
	v_add_f64 v[20:21], v[192:193], v[20:21]
	v_fmac_f64_e32 v[194:195], s[36:37], v[12:13]
	v_mul_f64 v[192:193], v[14:15], s[26:27]
	v_add_f64 v[24:25], v[194:195], v[24:25]
	v_fma_f64 v[194:195], s[28:29], v[4:5], v[192:193]
	v_add_f64 v[30:31], v[194:195], v[30:31]
	v_mul_f64 v[194:195], v[6:7], s[28:29]
	v_fma_f64 v[192:193], v[4:5], s[28:29], -v[192:193]
	v_add_f64 v[26:27], v[196:197], v[26:27]
	;; [unrolled: 10-line block ×3, first 2 shown]
	v_fma_f64 v[196:197], s[48:49], v[12:13], v[194:195]
	v_add_f64 v[36:37], v[192:193], v[36:37]
	v_fmac_f64_e32 v[194:195], s[44:45], v[12:13]
	v_mul_f64 v[192:193], v[14:15], s[10:11]
	v_add_f64 v[54:55], v[194:195], v[54:55]
	v_fma_f64 v[194:195], s[8:9], v[4:5], v[192:193]
	v_mul_f64 v[198:199], v[6:7], s[8:9]
	v_add_f64 v[194:195], v[194:195], v[202:203]
	v_fma_f64 v[202:203], s[0:1], v[12:13], v[198:199]
	v_fma_f64 v[192:193], v[4:5], s[8:9], -v[192:193]
	v_fmac_f64_e32 v[198:199], s[10:11], v[12:13]
	v_add_f64 v[192:193], v[192:193], v[200:201]
	v_add_f64 v[198:199], v[198:199], v[206:207]
	v_mul_f64 v[200:201], v[14:15], s[18:19]
	v_mul_f64 v[206:207], v[6:7], s[20:21]
	v_add_f64 v[196:197], v[196:197], v[204:205]
	v_add_f64 v[202:203], v[202:203], v[210:211]
	v_fma_f64 v[204:205], s[20:21], v[4:5], v[200:201]
	v_fma_f64 v[210:211], s[22:23], v[12:13], v[206:207]
	v_fma_f64 v[200:201], v[4:5], s[20:21], -v[200:201]
	v_fmac_f64_e32 v[206:207], s[18:19], v[12:13]
	v_add_f64 v[42:43], v[200:201], v[42:43]
	v_add_f64 v[200:201], v[206:207], v[208:209]
	v_mul_f64 v[206:207], v[14:15], s[50:51]
	v_fma_f64 v[208:209], s[52:53], v[4:5], v[206:207]
	v_add_f64 v[44:45], v[208:209], v[44:45]
	v_mul_f64 v[208:209], v[6:7], s[52:53]
	v_fma_f64 v[206:207], v[4:5], s[52:53], -v[206:207]
	v_mul_f64 v[14:15], v[14:15], s[16:17]
	v_add_f64 v[40:41], v[210:211], v[40:41]
	v_fma_f64 v[210:211], s[54:55], v[12:13], v[208:209]
	v_add_f64 v[50:51], v[206:207], v[50:51]
	v_fmac_f64_e32 v[208:209], s[50:51], v[12:13]
	v_fma_f64 v[206:207], s[14:15], v[4:5], v[14:15]
	v_mul_f64 v[6:7], v[6:7], s[14:15]
	v_fma_f64 v[4:5], v[4:5], s[14:15], -v[14:15]
	v_add_f64 v[14:15], v[186:187], -v[190:191]
	v_add_f64 v[46:47], v[208:209], v[46:47]
	v_fma_f64 v[208:209], s[12:13], v[12:13], v[6:7]
	v_add_f64 v[2:3], v[4:5], v[2:3]
	v_fmac_f64_e32 v[6:7], s[16:17], v[12:13]
	v_add_f64 v[4:5], v[184:185], v[188:189]
	v_add_f64 v[12:13], v[184:185], -v[188:189]
	v_mul_f64 v[184:185], v[14:15], s[44:45]
	v_add_f64 v[0:1], v[6:7], v[0:1]
	v_add_f64 v[6:7], v[186:187], v[190:191]
	v_fma_f64 v[186:187], s[46:47], v[4:5], v[184:185]
	v_add_f64 v[10:11], v[186:187], v[10:11]
	v_mul_f64 v[186:187], v[6:7], s[46:47]
	v_fma_f64 v[184:185], v[4:5], s[46:47], -v[184:185]
	v_fma_f64 v[188:189], s[48:49], v[12:13], v[186:187]
	v_add_f64 v[8:9], v[184:185], v[8:9]
	v_fmac_f64_e32 v[186:187], s[44:45], v[12:13]
	v_mul_f64 v[184:185], v[14:15], s[16:17]
	v_add_f64 v[16:17], v[186:187], v[16:17]
	v_fma_f64 v[186:187], s[14:15], v[4:5], v[184:185]
	v_add_f64 v[22:23], v[186:187], v[22:23]
	v_mul_f64 v[186:187], v[6:7], s[14:15]
	v_fma_f64 v[184:185], v[4:5], s[14:15], -v[184:185]
	v_add_f64 v[18:19], v[188:189], v[18:19]
	v_fma_f64 v[188:189], s[12:13], v[12:13], v[186:187]
	v_add_f64 v[20:21], v[184:185], v[20:21]
	v_fmac_f64_e32 v[186:187], s[16:17], v[12:13]
	v_mul_f64 v[184:185], v[14:15], s[0:1]
	v_add_f64 v[24:25], v[186:187], v[24:25]
	v_fma_f64 v[186:187], s[8:9], v[4:5], v[184:185]
	v_add_f64 v[30:31], v[186:187], v[30:31]
	v_mul_f64 v[186:187], v[6:7], s[8:9]
	v_fma_f64 v[184:185], v[4:5], s[8:9], -v[184:185]
	v_add_f64 v[26:27], v[188:189], v[26:27]
	;; [unrolled: 10-line block ×3, first 2 shown]
	v_fma_f64 v[188:189], s[38:39], v[12:13], v[186:187]
	v_add_f64 v[36:37], v[184:185], v[36:37]
	v_fmac_f64_e32 v[186:187], s[42:43], v[12:13]
	v_mul_f64 v[184:185], v[14:15], s[26:27]
	v_add_f64 v[54:55], v[186:187], v[54:55]
	v_fma_f64 v[186:187], s[28:29], v[4:5], v[184:185]
	v_mul_f64 v[190:191], v[6:7], s[28:29]
	v_add_f64 v[186:187], v[186:187], v[194:195]
	v_fma_f64 v[194:195], s[34:35], v[12:13], v[190:191]
	v_fma_f64 v[184:185], v[4:5], s[28:29], -v[184:185]
	v_fmac_f64_e32 v[190:191], s[26:27], v[12:13]
	v_add_f64 v[184:185], v[184:185], v[192:193]
	v_add_f64 v[190:191], v[190:191], v[198:199]
	v_mul_f64 v[192:193], v[14:15], s[50:51]
	v_mul_f64 v[198:199], v[6:7], s[52:53]
	v_add_f64 v[242:243], v[242:243], v[254:255]
	v_add_f64 v[188:189], v[188:189], v[196:197]
	;; [unrolled: 1-line block ×3, first 2 shown]
	v_fma_f64 v[196:197], s[52:53], v[4:5], v[192:193]
	v_fma_f64 v[202:203], s[54:55], v[12:13], v[198:199]
	v_fma_f64 v[192:193], v[4:5], s[52:53], -v[192:193]
	v_fmac_f64_e32 v[198:199], s[50:51], v[12:13]
	v_add_f64 v[48:49], v[246:247], v[48:49]
	v_add_f64 v[52:53], v[244:245], v[52:53]
	;; [unrolled: 1-line block ×5, first 2 shown]
	v_mul_f64 v[198:199], v[14:15], s[22:23]
	v_add_f64 v[48:49], v[238:239], v[48:49]
	v_add_f64 v[52:53], v[236:237], v[52:53]
	v_add_f64 v[222:223], v[222:223], v[230:231]
	v_fma_f64 v[200:201], s[20:21], v[4:5], v[198:199]
	v_add_f64 v[48:49], v[226:227], v[48:49]
	v_add_f64 v[52:53], v[224:225], v[52:53]
	v_add_f64 v[212:213], v[212:213], v[220:221]
	v_add_f64 v[214:215], v[214:215], v[222:223]
	v_add_f64 v[44:45], v[200:201], v[44:45]
	v_mul_f64 v[200:201], v[6:7], s[20:21]
	v_fma_f64 v[198:199], v[4:5], s[20:21], -v[198:199]
	v_mul_f64 v[14:15], v[14:15], s[24:25]
	v_add_f64 v[48:49], v[218:219], v[48:49]
	v_add_f64 v[52:53], v[216:217], v[52:53]
	;; [unrolled: 1-line block ×5, first 2 shown]
	v_fma_f64 v[202:203], s[18:19], v[12:13], v[200:201]
	v_add_f64 v[50:51], v[198:199], v[50:51]
	v_fmac_f64_e32 v[200:201], s[22:23], v[12:13]
	v_fma_f64 v[198:199], s[30:31], v[4:5], v[14:15]
	v_mul_f64 v[6:7], v[6:7], s[30:31]
	v_fma_f64 v[4:5], v[4:5], s[30:31], -v[14:15]
	v_add_f64 v[212:213], v[178:179], -v[182:183]
	v_add_f64 v[48:49], v[210:211], v[48:49]
	v_add_f64 v[52:53], v[208:209], v[52:53]
	;; [unrolled: 1-line block ×5, first 2 shown]
	v_fma_f64 v[198:199], s[36:37], v[12:13], v[6:7]
	v_add_f64 v[204:205], v[4:5], v[2:3]
	v_fmac_f64_e32 v[6:7], s[24:25], v[12:13]
	v_add_f64 v[208:209], v[176:177], v[180:181]
	v_mul_f64 v[4:5], v[212:213], s[50:51]
	v_add_f64 v[48:49], v[202:203], v[48:49]
	v_add_f64 v[206:207], v[6:7], v[0:1]
	v_add_f64 v[202:203], v[178:179], v[182:183]
	v_fma_f64 v[0:1], s[52:53], v[208:209], v[4:5]
	v_fma_f64 v[4:5], v[208:209], s[52:53], -v[4:5]
	v_mul_f64 v[12:13], v[212:213], s[34:35]
	v_add_f64 v[210:211], v[176:177], -v[180:181]
	v_mul_f64 v[6:7], v[202:203], s[52:53]
	v_add_f64 v[4:5], v[4:5], v[8:9]
	v_fma_f64 v[8:9], s[28:29], v[208:209], v[12:13]
	v_fma_f64 v[2:3], s[54:55], v[210:211], v[6:7]
	v_add_f64 v[8:9], v[8:9], v[22:23]
	v_fma_f64 v[12:13], v[208:209], s[28:29], -v[12:13]
	v_mul_f64 v[22:23], v[202:203], s[46:47]
	v_add_f64 v[2:3], v[2:3], v[18:19]
	v_fmac_f64_e32 v[6:7], s[50:51], v[210:211]
	v_add_f64 v[12:13], v[12:13], v[20:21]
	v_mul_f64 v[20:21], v[212:213], s[44:45]
	v_fma_f64 v[18:19], s[48:49], v[210:211], v[22:23]
	v_fmac_f64_e32 v[22:23], s[44:45], v[210:211]
	v_add_f64 v[6:7], v[6:7], v[16:17]
	v_mul_f64 v[14:15], v[202:203], s[28:29]
	v_fma_f64 v[16:17], s[46:47], v[208:209], v[20:21]
	v_fma_f64 v[20:21], v[208:209], s[46:47], -v[20:21]
	v_add_f64 v[22:23], v[22:23], v[32:33]
	v_mul_f64 v[32:33], v[212:213], s[38:39]
	v_add_f64 v[0:1], v[0:1], v[10:11]
	v_fma_f64 v[10:11], s[26:27], v[210:211], v[14:15]
	v_fmac_f64_e32 v[14:15], s[34:35], v[210:211]
	v_add_f64 v[18:19], v[18:19], v[34:35]
	v_add_f64 v[20:21], v[20:21], v[28:29]
	v_mul_f64 v[28:29], v[212:213], s[22:23]
	v_fma_f64 v[34:35], s[40:41], v[208:209], v[32:33]
	v_add_f64 v[14:15], v[14:15], v[24:25]
	v_fma_f64 v[24:25], s[20:21], v[208:209], v[28:29]
	v_fma_f64 v[28:29], v[208:209], s[20:21], -v[28:29]
	v_add_f64 v[176:177], v[34:35], v[186:187]
	v_mul_f64 v[34:35], v[202:203], s[40:41]
	v_fma_f64 v[32:33], v[208:209], s[40:41], -v[32:33]
	v_add_f64 v[28:29], v[28:29], v[36:37]
	v_fma_f64 v[36:37], s[42:43], v[210:211], v[34:35]
	v_add_f64 v[180:181], v[32:33], v[184:185]
	v_fmac_f64_e32 v[34:35], s[38:39], v[210:211]
	v_mul_f64 v[32:33], v[212:213], s[16:17]
	v_add_f64 v[16:17], v[16:17], v[30:31]
	v_mul_f64 v[30:31], v[202:203], s[20:21]
	v_add_f64 v[182:183], v[34:35], v[190:191]
	v_fma_f64 v[34:35], s[14:15], v[208:209], v[32:33]
	v_add_f64 v[10:11], v[10:11], v[26:27]
	v_fma_f64 v[26:27], s[18:19], v[210:211], v[30:31]
	v_add_f64 v[184:185], v[34:35], v[196:197]
	v_mul_f64 v[34:35], v[202:203], s[14:15]
	v_fma_f64 v[32:33], v[208:209], s[14:15], -v[32:33]
	v_add_f64 v[26:27], v[26:27], v[188:189]
	v_add_f64 v[178:179], v[36:37], v[194:195]
	v_fma_f64 v[36:37], s[12:13], v[210:211], v[34:35]
	v_add_f64 v[188:189], v[32:33], v[42:43]
	v_fmac_f64_e32 v[34:35], s[16:17], v[210:211]
	v_mul_f64 v[32:33], v[212:213], s[24:25]
	v_add_f64 v[190:191], v[34:35], v[192:193]
	v_fma_f64 v[34:35], s[30:31], v[208:209], v[32:33]
	v_add_f64 v[192:193], v[34:35], v[44:45]
	v_mul_f64 v[34:35], v[202:203], s[30:31]
	v_fma_f64 v[32:33], v[208:209], s[30:31], -v[32:33]
	v_add_f64 v[186:187], v[36:37], v[40:41]
	v_fma_f64 v[36:37], s[36:37], v[210:211], v[34:35]
	v_add_f64 v[196:197], v[32:33], v[50:51]
	v_fmac_f64_e32 v[34:35], s[24:25], v[210:211]
	v_mul_f64 v[32:33], v[212:213], s[10:11]
	v_add_f64 v[52:53], v[198:199], v[52:53]
	v_add_f64 v[198:199], v[34:35], v[46:47]
	v_fma_f64 v[34:35], s[8:9], v[208:209], v[32:33]
	v_add_f64 v[200:201], v[34:35], v[200:201]
	v_mul_f64 v[34:35], v[202:203], s[8:9]
	v_fmac_f64_e32 v[30:31], s[22:23], v[210:211]
	v_add_f64 v[194:195], v[36:37], v[48:49]
	v_fma_f64 v[36:37], s[0:1], v[210:211], v[34:35]
	v_fma_f64 v[32:33], v[208:209], s[8:9], -v[32:33]
	v_fmac_f64_e32 v[34:35], s[10:11], v[210:211]
	v_add_f64 v[24:25], v[24:25], v[38:39]
	v_add_f64 v[30:31], v[30:31], v[54:55]
	;; [unrolled: 1-line block ×5, first 2 shown]
	s_barrier
	ds_write_b128 v248, v[172:175]
	ds_write_b128 v248, v[0:3] offset:16
	ds_write_b128 v248, v[8:11] offset:32
	;; [unrolled: 1-line block ×16, first 2 shown]
	s_waitcnt lgkmcnt(0)
	s_barrier
	ds_read_b128 v[172:175], v235
	ds_read_b128 v[0:3], v235 offset:544
	ds_read_b128 v[4:7], v235 offset:1088
	;; [unrolled: 1-line block ×16, first 2 shown]
	s_waitcnt lgkmcnt(14)
	v_mul_f64 v[32:33], v[82:83], v[2:3]
	v_fmac_f64_e32 v[32:33], v[80:81], v[0:1]
	v_mul_f64 v[0:1], v[82:83], v[0:1]
	v_fma_f64 v[0:1], v[80:81], v[2:3], -v[0:1]
	v_mul_f64 v[2:3], v[78:79], v[6:7]
	v_fmac_f64_e32 v[2:3], v[76:77], v[4:5]
	v_mul_f64 v[4:5], v[78:79], v[4:5]
	v_fma_f64 v[4:5], v[76:77], v[6:7], -v[4:5]
	s_waitcnt lgkmcnt(13)
	v_mul_f64 v[6:7], v[74:75], v[8:9]
	v_fma_f64 v[184:185], v[72:73], v[10:11], -v[6:7]
	s_waitcnt lgkmcnt(12)
	;; [unrolled: 3-line block ×3, first 2 shown]
	v_mul_f64 v[176:177], v[98:99], v[18:19]
	v_mul_f64 v[6:7], v[98:99], v[16:17]
	v_fmac_f64_e32 v[176:177], v[96:97], v[16:17]
	v_fma_f64 v[98:99], v[96:97], v[18:19], -v[6:7]
	s_waitcnt lgkmcnt(10)
	v_mul_f64 v[96:97], v[94:95], v[22:23]
	v_fmac_f64_e32 v[96:97], v[92:93], v[20:21]
	v_mul_f64 v[6:7], v[94:95], v[20:21]
	v_add_f64 v[20:21], v[174:175], v[0:1]
	v_mul_f64 v[182:183], v[74:75], v[10:11]
	v_add_f64 v[18:19], v[172:173], v[32:33]
	v_add_f64 v[20:21], v[20:21], v[4:5]
	v_fmac_f64_e32 v[182:183], v[72:73], v[8:9]
	v_mul_f64 v[178:179], v[70:71], v[14:15]
	v_add_f64 v[18:19], v[18:19], v[2:3]
	v_add_f64 v[20:21], v[20:21], v[184:185]
	v_fmac_f64_e32 v[178:179], v[68:69], v[12:13]
	v_add_f64 v[18:19], v[18:19], v[182:183]
	v_add_f64 v[20:21], v[20:21], v[180:181]
	v_fma_f64 v[92:93], v[92:93], v[22:23], -v[6:7]
	s_waitcnt lgkmcnt(9)
	v_mul_f64 v[6:7], v[90:91], v[24:25]
	v_add_f64 v[18:19], v[18:19], v[178:179]
	v_add_f64 v[20:21], v[20:21], v[98:99]
	v_mul_f64 v[80:81], v[90:91], v[26:27]
	v_fma_f64 v[82:83], v[88:89], v[26:27], -v[6:7]
	s_waitcnt lgkmcnt(8)
	v_mul_f64 v[6:7], v[86:87], v[28:29]
	v_add_f64 v[18:19], v[18:19], v[176:177]
	v_add_f64 v[20:21], v[20:21], v[92:93]
	v_fmac_f64_e32 v[80:81], v[88:89], v[24:25]
	v_mul_f64 v[72:73], v[86:87], v[30:31]
	v_fma_f64 v[74:75], v[84:85], v[30:31], -v[6:7]
	s_waitcnt lgkmcnt(7)
	v_mul_f64 v[6:7], v[114:115], v[186:187]
	v_add_f64 v[18:19], v[18:19], v[96:97]
	v_add_f64 v[20:21], v[20:21], v[82:83]
	v_fmac_f64_e32 v[72:73], v[84:85], v[28:29]
	;; [unrolled: 7-line block ×4, first 2 shown]
	v_mul_f64 v[88:89], v[106:107], v[196:197]
	v_fma_f64 v[90:91], v[104:105], v[196:197], -v[6:7]
	s_waitcnt lgkmcnt(4)
	v_mul_f64 v[94:95], v[102:103], v[200:201]
	v_mul_f64 v[6:7], v[102:103], v[198:199]
	v_add_f64 v[18:19], v[18:19], v[76:77]
	v_add_f64 v[20:21], v[20:21], v[86:87]
	v_fmac_f64_e32 v[88:89], v[104:105], v[194:195]
	v_fmac_f64_e32 v[94:95], v[100:101], v[198:199]
	v_fma_f64 v[100:101], v[100:101], v[200:201], -v[6:7]
	s_waitcnt lgkmcnt(3)
	v_mul_f64 v[6:7], v[130:131], v[202:203]
	v_add_f64 v[18:19], v[18:19], v[84:85]
	v_add_f64 v[20:21], v[20:21], v[90:91]
	v_mul_f64 v[102:103], v[130:131], v[204:205]
	v_fma_f64 v[104:105], v[128:129], v[204:205], -v[6:7]
	s_waitcnt lgkmcnt(2)
	v_mul_f64 v[8:9], v[126:127], v[206:207]
	v_add_f64 v[18:19], v[18:19], v[88:89]
	v_add_f64 v[20:21], v[20:21], v[100:101]
	v_fmac_f64_e32 v[102:103], v[128:129], v[202:203]
	v_mul_f64 v[6:7], v[126:127], v[208:209]
	v_fma_f64 v[8:9], v[124:125], v[208:209], -v[8:9]
	s_waitcnt lgkmcnt(1)
	v_mul_f64 v[12:13], v[122:123], v[210:211]
	v_add_f64 v[18:19], v[18:19], v[94:95]
	v_add_f64 v[20:21], v[20:21], v[104:105]
	v_fmac_f64_e32 v[6:7], v[124:125], v[206:207]
	;; [unrolled: 7-line block ×3, first 2 shown]
	v_mul_f64 v[14:15], v[118:119], v[216:217]
	v_fma_f64 v[16:17], v[116:117], v[216:217], -v[16:17]
	v_add_f64 v[18:19], v[18:19], v[6:7]
	v_add_f64 v[20:21], v[20:21], v[12:13]
	v_fmac_f64_e32 v[14:15], v[116:117], v[214:215]
	v_add_f64 v[18:19], v[18:19], v[10:11]
	v_add_f64 v[70:71], v[20:21], v[16:17]
	v_add_f64 v[20:21], v[0:1], v[16:17]
	v_add_f64 v[68:69], v[18:19], v[14:15]
	v_add_f64 v[18:19], v[32:33], v[14:15]
	v_add_f64 v[14:15], v[32:33], -v[14:15]
	v_mul_f64 v[24:25], v[20:21], s[28:29]
	v_mul_f64 v[32:33], v[20:21], s[20:21]
	v_mul_f64 v[40:41], v[20:21], s[14:15]
	v_mul_f64 v[48:49], v[20:21], s[8:9]
	v_mul_f64 v[106:107], v[20:21], s[30:31]
	v_mul_f64 v[114:115], v[20:21], s[40:41]
	v_mul_f64 v[122:123], v[20:21], s[46:47]
	v_mul_f64 v[20:21], v[20:21], s[52:53]
	v_add_f64 v[0:1], v[0:1], -v[16:17]
	v_fma_f64 v[128:129], s[54:55], v[14:15], v[20:21]
	v_fmac_f64_e32 v[20:21], s[50:51], v[14:15]
	v_mul_f64 v[16:17], v[0:1], s[26:27]
	v_fma_f64 v[26:27], s[34:35], v[14:15], v[24:25]
	v_fmac_f64_e32 v[24:25], s[26:27], v[14:15]
	v_mul_f64 v[28:29], v[0:1], s[18:19]
	;; [unrolled: 3-line block ×8, first 2 shown]
	v_add_f64 v[14:15], v[174:175], v[20:21]
	v_add_f64 v[20:21], v[4:5], v[12:13]
	v_add_f64 v[4:5], v[4:5], -v[12:13]
	v_fma_f64 v[22:23], s[28:29], v[18:19], v[16:17]
	v_fma_f64 v[16:17], v[18:19], s[28:29], -v[16:17]
	v_fma_f64 v[30:31], s[20:21], v[18:19], v[28:29]
	v_fma_f64 v[28:29], v[18:19], s[20:21], -v[28:29]
	v_fma_f64 v[38:39], s[14:15], v[18:19], v[36:37]
	v_fma_f64 v[36:37], v[18:19], s[14:15], -v[36:37]
	v_fma_f64 v[46:47], s[8:9], v[18:19], v[44:45]
	v_fma_f64 v[44:45], v[18:19], s[8:9], -v[44:45]
	v_fma_f64 v[54:55], s[30:31], v[18:19], v[52:53]
	v_fma_f64 v[52:53], v[18:19], s[30:31], -v[52:53]
	v_fma_f64 v[112:113], s[40:41], v[18:19], v[110:111]
	v_fma_f64 v[110:111], v[18:19], s[40:41], -v[110:111]
	v_fma_f64 v[120:121], s[46:47], v[18:19], v[118:119]
	v_fma_f64 v[118:119], v[18:19], s[46:47], -v[118:119]
	v_fma_f64 v[126:127], s[52:53], v[18:19], v[0:1]
	v_fma_f64 v[0:1], v[18:19], s[52:53], -v[0:1]
	v_add_f64 v[18:19], v[2:3], v[10:11]
	v_add_f64 v[2:3], v[2:3], -v[10:11]
	v_mul_f64 v[10:11], v[4:5], s[18:19]
	v_add_f64 v[22:23], v[172:173], v[22:23]
	v_fma_f64 v[12:13], s[20:21], v[18:19], v[10:11]
	v_add_f64 v[12:13], v[12:13], v[22:23]
	v_mul_f64 v[22:23], v[20:21], s[20:21]
	v_add_f64 v[16:17], v[172:173], v[16:17]
	v_add_f64 v[24:25], v[174:175], v[24:25]
	v_fma_f64 v[130:131], s[22:23], v[2:3], v[22:23]
	v_fma_f64 v[10:11], v[18:19], s[20:21], -v[10:11]
	v_fmac_f64_e32 v[22:23], s[18:19], v[2:3]
	v_add_f64 v[10:11], v[10:11], v[16:17]
	v_add_f64 v[16:17], v[22:23], v[24:25]
	v_mul_f64 v[22:23], v[4:5], s[0:1]
	v_add_f64 v[30:31], v[172:173], v[30:31]
	v_fma_f64 v[24:25], s[8:9], v[18:19], v[22:23]
	v_add_f64 v[26:27], v[174:175], v[26:27]
	v_add_f64 v[24:25], v[24:25], v[30:31]
	v_mul_f64 v[30:31], v[20:21], s[8:9]
	v_add_f64 v[28:29], v[172:173], v[28:29]
	v_add_f64 v[32:33], v[174:175], v[32:33]
	v_add_f64 v[26:27], v[130:131], v[26:27]
	v_fma_f64 v[130:131], s[10:11], v[2:3], v[30:31]
	v_fma_f64 v[22:23], v[18:19], s[8:9], -v[22:23]
	v_fmac_f64_e32 v[30:31], s[0:1], v[2:3]
	v_add_f64 v[22:23], v[22:23], v[28:29]
	v_add_f64 v[28:29], v[30:31], v[32:33]
	v_mul_f64 v[30:31], v[4:5], s[38:39]
	v_add_f64 v[38:39], v[172:173], v[38:39]
	v_fma_f64 v[32:33], s[40:41], v[18:19], v[30:31]
	v_add_f64 v[34:35], v[174:175], v[34:35]
	v_add_f64 v[32:33], v[32:33], v[38:39]
	v_mul_f64 v[38:39], v[20:21], s[40:41]
	v_add_f64 v[36:37], v[172:173], v[36:37]
	;; [unrolled: 14-line block ×6, first 2 shown]
	v_add_f64 v[122:123], v[174:175], v[122:123]
	v_add_f64 v[116:117], v[130:131], v[116:117]
	v_fma_f64 v[130:131], s[12:13], v[2:3], v[120:121]
	v_fma_f64 v[112:113], v[18:19], s[14:15], -v[112:113]
	v_fmac_f64_e32 v[120:121], s[16:17], v[2:3]
	v_mul_f64 v[20:21], v[20:21], s[28:29]
	v_add_f64 v[112:113], v[112:113], v[118:119]
	v_add_f64 v[118:119], v[120:121], v[122:123]
	v_mul_f64 v[4:5], v[4:5], s[34:35]
	v_fma_f64 v[122:123], s[26:27], v[2:3], v[20:21]
	v_fmac_f64_e32 v[20:21], s[34:35], v[2:3]
	v_add_f64 v[0:1], v[172:173], v[0:1]
	v_fma_f64 v[120:121], s[28:29], v[18:19], v[4:5]
	v_fma_f64 v[4:5], v[18:19], s[28:29], -v[4:5]
	v_add_f64 v[2:3], v[20:21], v[14:15]
	v_add_f64 v[14:15], v[184:185], v[8:9]
	v_add_f64 v[8:9], v[184:185], -v[8:9]
	v_add_f64 v[0:1], v[4:5], v[0:1]
	v_add_f64 v[4:5], v[182:183], v[6:7]
	v_mul_f64 v[18:19], v[8:9], s[12:13]
	v_fma_f64 v[20:21], s[14:15], v[4:5], v[18:19]
	v_add_f64 v[126:127], v[172:173], v[126:127]
	v_add_f64 v[6:7], v[182:183], -v[6:7]
	v_add_f64 v[12:13], v[20:21], v[12:13]
	v_mul_f64 v[20:21], v[14:15], s[14:15]
	v_fma_f64 v[18:19], v[4:5], s[14:15], -v[18:19]
	v_add_f64 v[120:121], v[120:121], v[126:127]
	v_fma_f64 v[126:127], s[16:17], v[6:7], v[20:21]
	v_add_f64 v[10:11], v[18:19], v[10:11]
	v_fmac_f64_e32 v[20:21], s[12:13], v[6:7]
	v_mul_f64 v[18:19], v[8:9], s[38:39]
	v_add_f64 v[16:17], v[20:21], v[16:17]
	v_fma_f64 v[20:21], s[40:41], v[4:5], v[18:19]
	v_add_f64 v[20:21], v[20:21], v[24:25]
	v_mul_f64 v[24:25], v[14:15], s[40:41]
	v_add_f64 v[26:27], v[126:127], v[26:27]
	v_fma_f64 v[126:127], s[42:43], v[6:7], v[24:25]
	v_fma_f64 v[18:19], v[4:5], s[40:41], -v[18:19]
	v_fmac_f64_e32 v[24:25], s[38:39], v[6:7]
	v_add_f64 v[18:19], v[18:19], v[22:23]
	v_add_f64 v[22:23], v[24:25], v[28:29]
	v_mul_f64 v[24:25], v[8:9], s[54:55]
	v_fma_f64 v[28:29], s[52:53], v[4:5], v[24:25]
	v_add_f64 v[28:29], v[28:29], v[32:33]
	v_mul_f64 v[32:33], v[14:15], s[52:53]
	v_add_f64 v[34:35], v[126:127], v[34:35]
	v_fma_f64 v[126:127], s[50:51], v[6:7], v[32:33]
	v_fma_f64 v[24:25], v[4:5], s[52:53], -v[24:25]
	v_fmac_f64_e32 v[32:33], s[54:55], v[6:7]
	v_add_f64 v[24:25], v[24:25], v[30:31]
	v_add_f64 v[30:31], v[32:33], v[36:37]
	v_mul_f64 v[32:33], v[8:9], s[36:37]
	;; [unrolled: 10-line block ×5, first 2 shown]
	v_fma_f64 v[110:111], s[8:9], v[4:5], v[106:107]
	v_add_f64 v[110:111], v[110:111], v[114:115]
	v_mul_f64 v[114:115], v[14:15], s[8:9]
	v_add_f64 v[116:117], v[126:127], v[116:117]
	v_fma_f64 v[126:127], s[10:11], v[6:7], v[114:115]
	v_fma_f64 v[106:107], v[4:5], s[8:9], -v[106:107]
	v_fmac_f64_e32 v[114:115], s[0:1], v[6:7]
	v_mul_f64 v[14:15], v[14:15], s[46:47]
	v_add_f64 v[106:107], v[106:107], v[112:113]
	v_add_f64 v[112:113], v[114:115], v[118:119]
	v_mul_f64 v[8:9], v[8:9], s[44:45]
	v_fma_f64 v[118:119], s[48:49], v[6:7], v[14:15]
	v_fmac_f64_e32 v[14:15], s[44:45], v[6:7]
	v_fma_f64 v[114:115], s[46:47], v[4:5], v[8:9]
	v_fma_f64 v[4:5], v[4:5], s[46:47], -v[8:9]
	v_add_f64 v[2:3], v[14:15], v[2:3]
	v_add_f64 v[14:15], v[180:181], -v[104:105]
	v_add_f64 v[0:1], v[4:5], v[0:1]
	v_add_f64 v[4:5], v[178:179], v[102:103]
	v_add_f64 v[8:9], v[178:179], -v[102:103]
	v_mul_f64 v[102:103], v[14:15], s[0:1]
	v_add_f64 v[6:7], v[180:181], v[104:105]
	v_fma_f64 v[104:105], s[8:9], v[4:5], v[102:103]
	v_add_f64 v[12:13], v[104:105], v[12:13]
	v_mul_f64 v[104:105], v[6:7], s[8:9]
	v_fma_f64 v[102:103], v[4:5], s[8:9], -v[102:103]
	v_add_f64 v[114:115], v[114:115], v[120:121]
	v_fma_f64 v[120:121], s[10:11], v[8:9], v[104:105]
	v_add_f64 v[10:11], v[102:103], v[10:11]
	v_fmac_f64_e32 v[104:105], s[0:1], v[8:9]
	v_mul_f64 v[102:103], v[14:15], s[50:51]
	v_add_f64 v[16:17], v[104:105], v[16:17]
	v_fma_f64 v[104:105], s[52:53], v[4:5], v[102:103]
	v_add_f64 v[20:21], v[104:105], v[20:21]
	v_mul_f64 v[104:105], v[6:7], s[52:53]
	v_fma_f64 v[102:103], v[4:5], s[52:53], -v[102:103]
	v_add_f64 v[26:27], v[120:121], v[26:27]
	v_fma_f64 v[120:121], s[54:55], v[8:9], v[104:105]
	v_add_f64 v[18:19], v[102:103], v[18:19]
	v_fmac_f64_e32 v[104:105], s[50:51], v[8:9]
	;; [unrolled: 10-line block ×6, first 2 shown]
	v_mul_f64 v[102:103], v[14:15], s[42:43]
	v_add_f64 v[54:55], v[104:105], v[54:55]
	v_fma_f64 v[104:105], s[40:41], v[4:5], v[102:103]
	v_add_f64 v[104:105], v[104:105], v[110:111]
	v_mul_f64 v[110:111], v[6:7], s[40:41]
	v_add_f64 v[116:117], v[120:121], v[116:117]
	v_fma_f64 v[120:121], s[38:39], v[8:9], v[110:111]
	v_fma_f64 v[102:103], v[4:5], s[40:41], -v[102:103]
	v_fmac_f64_e32 v[110:111], s[42:43], v[8:9]
	v_mul_f64 v[14:15], v[14:15], s[22:23]
	v_add_f64 v[102:103], v[102:103], v[106:107]
	v_add_f64 v[106:107], v[110:111], v[112:113]
	v_fma_f64 v[110:111], s[20:21], v[4:5], v[14:15]
	v_mul_f64 v[6:7], v[6:7], s[20:21]
	v_fma_f64 v[4:5], v[4:5], s[20:21], -v[14:15]
	v_add_f64 v[14:15], v[98:99], -v[100:101]
	v_fma_f64 v[112:113], s[18:19], v[8:9], v[6:7]
	v_add_f64 v[0:1], v[4:5], v[0:1]
	v_fmac_f64_e32 v[6:7], s[22:23], v[8:9]
	v_add_f64 v[4:5], v[176:177], v[94:95]
	v_add_f64 v[8:9], v[176:177], -v[94:95]
	v_mul_f64 v[94:95], v[14:15], s[24:25]
	v_add_f64 v[2:3], v[6:7], v[2:3]
	v_add_f64 v[6:7], v[98:99], v[100:101]
	v_fma_f64 v[98:99], s[30:31], v[4:5], v[94:95]
	v_add_f64 v[12:13], v[98:99], v[12:13]
	v_mul_f64 v[98:99], v[6:7], s[30:31]
	v_fma_f64 v[94:95], v[4:5], s[30:31], -v[94:95]
	v_fma_f64 v[100:101], s[36:37], v[8:9], v[98:99]
	v_add_f64 v[10:11], v[94:95], v[10:11]
	v_fmac_f64_e32 v[98:99], s[24:25], v[8:9]
	v_mul_f64 v[94:95], v[14:15], s[48:49]
	v_add_f64 v[16:17], v[98:99], v[16:17]
	v_fma_f64 v[98:99], s[46:47], v[4:5], v[94:95]
	v_add_f64 v[20:21], v[98:99], v[20:21]
	v_mul_f64 v[98:99], v[6:7], s[46:47]
	v_fma_f64 v[94:95], v[4:5], s[46:47], -v[94:95]
	v_add_f64 v[26:27], v[100:101], v[26:27]
	v_fma_f64 v[100:101], s[44:45], v[8:9], v[98:99]
	v_add_f64 v[18:19], v[94:95], v[18:19]
	v_fmac_f64_e32 v[98:99], s[48:49], v[8:9]
	v_mul_f64 v[94:95], v[14:15], s[22:23]
	v_add_f64 v[22:23], v[98:99], v[22:23]
	v_fma_f64 v[98:99], s[20:21], v[4:5], v[94:95]
	v_add_f64 v[28:29], v[98:99], v[28:29]
	v_mul_f64 v[98:99], v[6:7], s[20:21]
	v_fma_f64 v[94:95], v[4:5], s[20:21], -v[94:95]
	v_add_f64 v[34:35], v[100:101], v[34:35]
	;; [unrolled: 10-line block ×5, first 2 shown]
	v_fma_f64 v[108:109], s[0:1], v[8:9], v[98:99]
	v_add_f64 v[48:49], v[94:95], v[48:49]
	v_fmac_f64_e32 v[98:99], s[10:11], v[8:9]
	v_mul_f64 v[94:95], v[14:15], s[26:27]
	v_add_f64 v[54:55], v[98:99], v[54:55]
	v_fma_f64 v[98:99], s[28:29], v[4:5], v[94:95]
	v_add_f64 v[98:99], v[98:99], v[104:105]
	v_mul_f64 v[104:105], v[6:7], s[28:29]
	v_add_f64 v[110:111], v[110:111], v[114:115]
	v_fma_f64 v[114:115], s[34:35], v[8:9], v[104:105]
	v_fma_f64 v[94:95], v[4:5], s[28:29], -v[94:95]
	v_fmac_f64_e32 v[104:105], s[26:27], v[8:9]
	v_mul_f64 v[14:15], v[14:15], s[38:39]
	v_add_f64 v[94:95], v[94:95], v[102:103]
	v_add_f64 v[102:103], v[104:105], v[106:107]
	v_fma_f64 v[104:105], s[40:41], v[4:5], v[14:15]
	v_mul_f64 v[6:7], v[6:7], s[40:41]
	v_fma_f64 v[4:5], v[4:5], s[40:41], -v[14:15]
	v_add_f64 v[14:15], v[92:93], -v[90:91]
	v_fma_f64 v[106:107], s[42:43], v[8:9], v[6:7]
	v_add_f64 v[0:1], v[4:5], v[0:1]
	v_fmac_f64_e32 v[6:7], s[38:39], v[8:9]
	v_add_f64 v[4:5], v[96:97], v[88:89]
	v_add_f64 v[8:9], v[96:97], -v[88:89]
	v_mul_f64 v[88:89], v[14:15], s[38:39]
	v_add_f64 v[2:3], v[6:7], v[2:3]
	v_add_f64 v[6:7], v[92:93], v[90:91]
	v_fma_f64 v[90:91], s[40:41], v[4:5], v[88:89]
	v_add_f64 v[12:13], v[90:91], v[12:13]
	v_mul_f64 v[90:91], v[6:7], s[40:41]
	v_fma_f64 v[88:89], v[4:5], s[40:41], -v[88:89]
	v_fma_f64 v[92:93], s[42:43], v[8:9], v[90:91]
	v_add_f64 v[10:11], v[88:89], v[10:11]
	v_fmac_f64_e32 v[90:91], s[38:39], v[8:9]
	v_mul_f64 v[88:89], v[14:15], s[36:37]
	v_add_f64 v[16:17], v[90:91], v[16:17]
	v_fma_f64 v[90:91], s[30:31], v[4:5], v[88:89]
	v_add_f64 v[20:21], v[90:91], v[20:21]
	v_mul_f64 v[90:91], v[6:7], s[30:31]
	v_fma_f64 v[88:89], v[4:5], s[30:31], -v[88:89]
	v_add_f64 v[26:27], v[92:93], v[26:27]
	v_fma_f64 v[92:93], s[24:25], v[8:9], v[90:91]
	v_add_f64 v[18:19], v[88:89], v[18:19]
	v_fmac_f64_e32 v[90:91], s[36:37], v[8:9]
	v_mul_f64 v[88:89], v[14:15], s[26:27]
	v_add_f64 v[22:23], v[90:91], v[22:23]
	v_fma_f64 v[90:91], s[28:29], v[4:5], v[88:89]
	v_add_f64 v[28:29], v[90:91], v[28:29]
	v_mul_f64 v[90:91], v[6:7], s[28:29]
	v_fma_f64 v[88:89], v[4:5], s[28:29], -v[88:89]
	v_add_f64 v[34:35], v[92:93], v[34:35]
	;; [unrolled: 10-line block ×4, first 2 shown]
	v_fma_f64 v[92:93], s[0:1], v[8:9], v[90:91]
	v_add_f64 v[40:41], v[88:89], v[40:41]
	v_fmac_f64_e32 v[90:91], s[10:11], v[8:9]
	v_mul_f64 v[88:89], v[14:15], s[18:19]
	v_add_f64 v[46:47], v[90:91], v[46:47]
	v_fma_f64 v[90:91], s[20:21], v[4:5], v[88:89]
	v_add_f64 v[52:53], v[90:91], v[52:53]
	v_mul_f64 v[90:91], v[6:7], s[20:21]
	v_fma_f64 v[88:89], v[4:5], s[20:21], -v[88:89]
	v_fma_f64 v[96:97], s[22:23], v[8:9], v[90:91]
	v_add_f64 v[48:49], v[88:89], v[48:49]
	v_fmac_f64_e32 v[90:91], s[18:19], v[8:9]
	v_mul_f64 v[88:89], v[14:15], s[50:51]
	v_add_f64 v[54:55], v[90:91], v[54:55]
	v_fma_f64 v[90:91], s[52:53], v[4:5], v[88:89]
	v_add_f64 v[90:91], v[90:91], v[98:99]
	v_mul_f64 v[98:99], v[6:7], s[52:53]
	v_add_f64 v[92:93], v[92:93], v[100:101]
	v_fma_f64 v[100:101], s[54:55], v[8:9], v[98:99]
	v_fma_f64 v[88:89], v[4:5], s[52:53], -v[88:89]
	v_fmac_f64_e32 v[98:99], s[50:51], v[8:9]
	v_mul_f64 v[14:15], v[14:15], s[16:17]
	v_add_f64 v[88:89], v[88:89], v[94:95]
	v_add_f64 v[94:95], v[98:99], v[102:103]
	v_fma_f64 v[98:99], s[14:15], v[4:5], v[14:15]
	v_mul_f64 v[6:7], v[6:7], s[14:15]
	v_fma_f64 v[4:5], v[4:5], s[14:15], -v[14:15]
	v_add_f64 v[14:15], v[82:83], -v[86:87]
	v_fma_f64 v[102:103], s[12:13], v[8:9], v[6:7]
	v_add_f64 v[0:1], v[4:5], v[0:1]
	v_fmac_f64_e32 v[6:7], s[16:17], v[8:9]
	v_add_f64 v[4:5], v[80:81], v[84:85]
	v_add_f64 v[8:9], v[80:81], -v[84:85]
	v_mul_f64 v[80:81], v[14:15], s[44:45]
	v_add_f64 v[2:3], v[6:7], v[2:3]
	v_add_f64 v[6:7], v[82:83], v[86:87]
	v_fma_f64 v[82:83], s[46:47], v[4:5], v[80:81]
	v_add_f64 v[12:13], v[82:83], v[12:13]
	v_mul_f64 v[82:83], v[6:7], s[46:47]
	v_fma_f64 v[80:81], v[4:5], s[46:47], -v[80:81]
	v_fma_f64 v[84:85], s[48:49], v[8:9], v[82:83]
	v_add_f64 v[10:11], v[80:81], v[10:11]
	v_fmac_f64_e32 v[82:83], s[44:45], v[8:9]
	v_mul_f64 v[80:81], v[14:15], s[16:17]
	v_add_f64 v[16:17], v[82:83], v[16:17]
	v_fma_f64 v[82:83], s[14:15], v[4:5], v[80:81]
	v_add_f64 v[20:21], v[82:83], v[20:21]
	v_mul_f64 v[82:83], v[6:7], s[14:15]
	v_fma_f64 v[80:81], v[4:5], s[14:15], -v[80:81]
	v_add_f64 v[26:27], v[84:85], v[26:27]
	v_fma_f64 v[84:85], s[12:13], v[8:9], v[82:83]
	v_add_f64 v[18:19], v[80:81], v[18:19]
	v_fmac_f64_e32 v[82:83], s[16:17], v[8:9]
	v_mul_f64 v[80:81], v[14:15], s[0:1]
	v_add_f64 v[22:23], v[82:83], v[22:23]
	v_fma_f64 v[82:83], s[8:9], v[4:5], v[80:81]
	v_add_f64 v[28:29], v[82:83], v[28:29]
	v_mul_f64 v[82:83], v[6:7], s[8:9]
	v_fma_f64 v[80:81], v[4:5], s[8:9], -v[80:81]
	v_add_f64 v[34:35], v[84:85], v[34:35]
	;; [unrolled: 10-line block ×4, first 2 shown]
	v_fma_f64 v[84:85], s[34:35], v[8:9], v[82:83]
	v_add_f64 v[40:41], v[80:81], v[40:41]
	v_fmac_f64_e32 v[82:83], s[26:27], v[8:9]
	v_mul_f64 v[80:81], v[14:15], s[50:51]
	v_add_f64 v[46:47], v[82:83], v[46:47]
	v_fma_f64 v[82:83], s[52:53], v[4:5], v[80:81]
	v_add_f64 v[124:125], v[174:175], v[124:125]
	v_add_f64 v[128:129], v[174:175], v[128:129]
	;; [unrolled: 1-line block ×3, first 2 shown]
	v_mul_f64 v[82:83], v[6:7], s[52:53]
	v_fma_f64 v[80:81], v[4:5], s[52:53], -v[80:81]
	v_add_f64 v[124:125], v[130:131], v[124:125]
	v_add_f64 v[122:123], v[122:123], v[128:129]
	;; [unrolled: 1-line block ×3, first 2 shown]
	v_fma_f64 v[86:87], s[54:55], v[8:9], v[82:83]
	v_add_f64 v[48:49], v[80:81], v[48:49]
	v_fmac_f64_e32 v[82:83], s[50:51], v[8:9]
	v_mul_f64 v[80:81], v[14:15], s[22:23]
	v_add_f64 v[124:125], v[126:127], v[124:125]
	v_add_f64 v[118:119], v[118:119], v[122:123]
	;; [unrolled: 1-line block ×5, first 2 shown]
	v_fma_f64 v[82:83], s[20:21], v[4:5], v[80:81]
	v_fma_f64 v[80:81], v[4:5], s[20:21], -v[80:81]
	v_mul_f64 v[14:15], v[14:15], s[24:25]
	v_add_f64 v[120:121], v[120:121], v[124:125]
	v_add_f64 v[112:113], v[112:113], v[118:119]
	;; [unrolled: 1-line block ×5, first 2 shown]
	v_mul_f64 v[82:83], v[6:7], s[20:21]
	v_add_f64 v[96:97], v[80:81], v[88:89]
	v_fma_f64 v[80:81], s[30:31], v[4:5], v[14:15]
	v_mul_f64 v[6:7], v[6:7], s[30:31]
	v_add_f64 v[114:115], v[114:115], v[120:121]
	v_add_f64 v[106:107], v[106:107], v[112:113]
	;; [unrolled: 1-line block ×3, first 2 shown]
	v_fma_f64 v[80:81], s[36:37], v[8:9], v[6:7]
	v_fmac_f64_e32 v[6:7], s[24:25], v[8:9]
	v_add_f64 v[108:109], v[74:75], v[78:79]
	v_add_f64 v[100:101], v[100:101], v[114:115]
	;; [unrolled: 1-line block ×4, first 2 shown]
	v_fma_f64 v[92:93], s[18:19], v[8:9], v[82:83]
	v_fma_f64 v[4:5], v[4:5], s[30:31], -v[14:15]
	v_add_f64 v[104:105], v[6:7], v[2:3]
	v_add_f64 v[110:111], v[72:73], -v[76:77]
	v_add_f64 v[112:113], v[74:75], -v[78:79]
	v_mul_f64 v[6:7], v[108:109], s[52:53]
	v_add_f64 v[92:93], v[92:93], v[100:101]
	v_add_f64 v[100:101], v[80:81], v[102:103]
	;; [unrolled: 1-line block ×4, first 2 shown]
	v_mul_f64 v[4:5], v[112:113], s[50:51]
	v_fma_f64 v[2:3], s[54:55], v[110:111], v[6:7]
	v_fmac_f64_e32 v[6:7], s[50:51], v[110:111]
	v_fma_f64 v[0:1], s[52:53], v[106:107], v[4:5]
	v_add_f64 v[74:75], v[6:7], v[16:17]
	v_mul_f64 v[16:17], v[112:113], s[44:45]
	v_fmac_f64_e32 v[82:83], s[22:23], v[8:9]
	v_add_f64 v[0:1], v[0:1], v[12:13]
	v_fma_f64 v[4:5], v[106:107], s[52:53], -v[4:5]
	v_mul_f64 v[8:9], v[112:113], s[34:35]
	v_fma_f64 v[12:13], s[46:47], v[106:107], v[16:17]
	v_fma_f64 v[16:17], v[106:107], s[46:47], -v[16:17]
	v_add_f64 v[72:73], v[4:5], v[10:11]
	v_fma_f64 v[4:5], s[28:29], v[106:107], v[8:9]
	v_add_f64 v[16:17], v[16:17], v[24:25]
	v_mul_f64 v[24:25], v[112:113], s[22:23]
	v_add_f64 v[4:5], v[4:5], v[20:21]
	v_mul_f64 v[10:11], v[108:109], s[28:29]
	v_fma_f64 v[8:9], v[106:107], s[28:29], -v[8:9]
	v_fma_f64 v[20:21], s[20:21], v[106:107], v[24:25]
	v_fma_f64 v[24:25], v[106:107], s[20:21], -v[24:25]
	v_fma_f64 v[6:7], s[26:27], v[110:111], v[10:11]
	v_add_f64 v[8:9], v[8:9], v[18:19]
	v_mul_f64 v[18:19], v[108:109], s[46:47]
	v_add_f64 v[24:25], v[24:25], v[32:33]
	v_mul_f64 v[32:33], v[112:113], s[38:39]
	v_add_f64 v[6:7], v[6:7], v[34:35]
	v_add_f64 v[12:13], v[12:13], v[28:29]
	v_fma_f64 v[14:15], s[48:49], v[110:111], v[18:19]
	v_fmac_f64_e32 v[18:19], s[44:45], v[110:111]
	v_fma_f64 v[28:29], s[40:41], v[106:107], v[32:33]
	v_mul_f64 v[34:35], v[108:109], s[40:41]
	v_fma_f64 v[32:33], v[106:107], s[40:41], -v[32:33]
	v_add_f64 v[18:19], v[18:19], v[30:31]
	v_fma_f64 v[30:31], s[42:43], v[110:111], v[34:35]
	v_add_f64 v[76:77], v[32:33], v[40:41]
	v_fmac_f64_e32 v[34:35], s[38:39], v[110:111]
	v_mul_f64 v[32:33], v[112:113], s[16:17]
	v_add_f64 v[78:79], v[34:35], v[46:47]
	v_fma_f64 v[34:35], s[14:15], v[106:107], v[32:33]
	v_add_f64 v[80:81], v[34:35], v[52:53]
	v_mul_f64 v[34:35], v[108:109], s[14:15]
	v_fma_f64 v[32:33], v[106:107], s[14:15], -v[32:33]
	v_add_f64 v[20:21], v[20:21], v[36:37]
	v_add_f64 v[30:31], v[30:31], v[84:85]
	v_fma_f64 v[36:37], s[12:13], v[110:111], v[34:35]
	v_add_f64 v[84:85], v[32:33], v[48:49]
	v_fmac_f64_e32 v[34:35], s[16:17], v[110:111]
	v_mul_f64 v[32:33], v[112:113], s[24:25]
	v_add_f64 v[94:95], v[82:83], v[94:95]
	v_add_f64 v[82:83], v[36:37], v[86:87]
	;; [unrolled: 1-line block ×3, first 2 shown]
	v_fma_f64 v[34:35], s[30:31], v[106:107], v[32:33]
	v_add_f64 v[88:89], v[34:35], v[90:91]
	v_mul_f64 v[34:35], v[108:109], s[30:31]
	v_fma_f64 v[36:37], s[36:37], v[110:111], v[34:35]
	v_fma_f64 v[32:33], v[106:107], s[30:31], -v[32:33]
	v_add_f64 v[90:91], v[36:37], v[92:93]
	v_add_f64 v[92:93], v[32:33], v[96:97]
	v_fmac_f64_e32 v[34:35], s[24:25], v[110:111]
	v_mul_f64 v[32:33], v[112:113], s[10:11]
	v_add_f64 v[94:95], v[34:35], v[94:95]
	v_fma_f64 v[34:35], s[8:9], v[106:107], v[32:33]
	v_add_f64 v[96:97], v[34:35], v[98:99]
	v_mul_f64 v[34:35], v[108:109], s[8:9]
	v_add_f64 v[2:3], v[2:3], v[26:27]
	v_fmac_f64_e32 v[10:11], s[34:35], v[110:111]
	v_mul_f64 v[26:27], v[108:109], s[20:21]
	v_fma_f64 v[36:37], s[0:1], v[110:111], v[34:35]
	v_fma_f64 v[32:33], v[106:107], s[8:9], -v[32:33]
	v_fmac_f64_e32 v[34:35], s[10:11], v[110:111]
	v_add_f64 v[10:11], v[10:11], v[22:23]
	v_fma_f64 v[22:23], s[18:19], v[110:111], v[26:27]
	v_fmac_f64_e32 v[26:27], s[22:23], v[110:111]
	v_add_f64 v[98:99], v[36:37], v[100:101]
	v_add_f64 v[100:101], v[32:33], v[102:103]
	;; [unrolled: 1-line block ×7, first 2 shown]
	s_barrier
	ds_write_b128 v249, v[68:71]
	ds_write_b128 v249, v[0:3] offset:272
	ds_write_b128 v249, v[4:7] offset:544
	;; [unrolled: 1-line block ×16, first 2 shown]
	s_waitcnt lgkmcnt(0)
	s_barrier
	ds_read_b128 v[100:103], v235
	ds_read_b128 v[96:99], v235 offset:544
	ds_read_b128 v[172:175], v235 offset:4624
	;; [unrolled: 1-line block ×15, first 2 shown]
	v_add_u32_e32 v177, 0xcc0, v235
	v_add_u32_e32 v176, 0xee0, v235
	s_and_saveexec_b64 s[0:1], vcc
	s_cbranch_execz .LBB0_7
; %bb.6:
	ds_read_b128 v[72:75], v235 offset:4352
	ds_read_b128 v[168:171], v235 offset:8976
.LBB0_7:
	s_or_b64 exec, exec, s[0:1]
	s_waitcnt lgkmcnt(12)
	v_mul_f64 v[4:5], v[142:143], v[128:129]
	v_fma_f64 v[10:11], v[140:141], v[130:131], -v[4:5]
	s_waitcnt lgkmcnt(9)
	v_mul_f64 v[4:5], v[146:147], v[124:125]
	v_fma_f64 v[18:19], v[144:145], v[126:127], -v[4:5]
	;; [unrolled: 3-line block ×4, first 2 shown]
	s_waitcnt lgkmcnt(4)
	v_mul_f64 v[4:5], v[158:159], v[112:113]
	v_mul_f64 v[0:1], v[134:135], v[174:175]
	;; [unrolled: 1-line block ×6, first 2 shown]
	v_fma_f64 v[38:39], v[156:157], v[114:115], -v[4:5]
	s_waitcnt lgkmcnt(1)
	v_mul_f64 v[4:5], v[162:163], v[108:109]
	v_fmac_f64_e32 v[0:1], v[132:133], v[172:173]
	v_fma_f64 v[2:3], v[132:133], v[174:175], -v[2:3]
	v_fmac_f64_e32 v[8:9], v[140:141], v[128:129]
	v_fmac_f64_e32 v[16:17], v[144:145], v[124:125]
	;; [unrolled: 1-line block ×3, first 2 shown]
	v_mul_f64 v[32:33], v[154:155], v[118:119]
	v_mul_f64 v[36:37], v[158:159], v[114:115]
	;; [unrolled: 1-line block ×3, first 2 shown]
	v_fma_f64 v[42:43], v[160:161], v[110:111], -v[4:5]
	s_waitcnt lgkmcnt(0)
	v_mul_f64 v[44:45], v[166:167], v[106:107]
	v_mul_f64 v[4:5], v[166:167], v[104:105]
	v_fmac_f64_e32 v[32:33], v[152:153], v[116:117]
	v_fmac_f64_e32 v[36:37], v[156:157], v[112:113]
	;; [unrolled: 1-line block ×4, first 2 shown]
	v_fma_f64 v[46:47], v[164:165], v[106:107], -v[4:5]
	v_add_f64 v[0:1], v[100:101], -v[0:1]
	v_add_f64 v[2:3], v[102:103], -v[2:3]
	;; [unrolled: 1-line block ×8, first 2 shown]
	v_fma_f64 v[4:5], v[100:101], 2.0, -v[0:1]
	v_fma_f64 v[6:7], v[102:103], 2.0, -v[2:3]
	;; [unrolled: 1-line block ×8, first 2 shown]
	v_add_f64 v[88:89], v[84:85], -v[32:33]
	v_add_f64 v[90:91], v[86:87], -v[34:35]
	v_add_f64 v[92:93], v[80:81], -v[36:37]
	v_add_f64 v[94:95], v[82:83], -v[38:39]
	v_add_f64 v[96:97], v[76:77], -v[40:41]
	v_add_f64 v[98:99], v[78:79], -v[42:43]
	v_add_f64 v[100:101], v[68:69], -v[44:45]
	v_add_f64 v[102:103], v[70:71], -v[46:47]
	v_fma_f64 v[84:85], v[84:85], 2.0, -v[88:89]
	v_fma_f64 v[86:87], v[86:87], 2.0, -v[90:91]
	;; [unrolled: 1-line block ×8, first 2 shown]
	ds_write_b128 v235, v[4:7]
	ds_write_b128 v233, v[0:3] offset:4624
	ds_write_b128 v235, v[12:15] offset:544
	;; [unrolled: 1-line block ×15, first 2 shown]
	s_and_saveexec_b64 s[0:1], vcc
	s_cbranch_execz .LBB0_9
; %bb.8:
	v_mul_f64 v[0:1], v[138:139], v[168:169]
	v_fma_f64 v[0:1], v[136:137], v[170:171], -v[0:1]
	v_add_f64 v[2:3], v[74:75], -v[0:1]
	v_mul_f64 v[0:1], v[138:139], v[170:171]
	v_fmac_f64_e32 v[0:1], v[136:137], v[168:169]
	v_add_f64 v[0:1], v[72:73], -v[0:1]
	v_fma_f64 v[6:7], v[74:75], 2.0, -v[2:3]
	v_fma_f64 v[4:5], v[72:73], 2.0, -v[0:1]
	ds_write_b128 v235, v[4:7] offset:4352
	ds_write_b128 v233, v[0:3] offset:8976
.LBB0_9:
	s_or_b64 exec, exec, s[0:1]
	s_waitcnt lgkmcnt(0)
	s_barrier
	ds_read_b128 v[0:3], v235
	v_mad_u64_u32 v[14:15], s[0:1], s6, v234, 0
	v_mov_b32_e32 v4, v15
	v_accvgpr_read_b32 v19, a3
	v_mad_u64_u32 v[4:5], s[0:1], s7, v234, v[4:5]
	v_accvgpr_read_b32 v18, a2
	v_mov_b32_e32 v15, v4
	ds_read_b128 v[4:7], v235 offset:544
	v_accvgpr_read_b32 v17, a1
	v_accvgpr_read_b32 v16, a0
	s_waitcnt lgkmcnt(1)
	v_mul_f64 v[8:9], v[18:19], v[2:3]
	v_fmac_f64_e32 v[8:9], v[16:17], v[0:1]
	s_mov_b32 s0, 0xd10d4986
	v_mul_f64 v[0:1], v[18:19], v[0:1]
	s_mov_b32 s1, 0x3f5c5894
	v_fma_f64 v[0:1], v[16:17], v[2:3], -v[0:1]
	v_mov_b32_e32 v12, s2
	v_mov_b32_e32 v13, s3
	v_mul_f64 v[10:11], v[0:1], s[0:1]
	v_mad_u64_u32 v[0:1], s[2:3], s4, v232, 0
	v_mov_b32_e32 v2, v1
	v_mad_u64_u32 v[2:3], s[2:3], s5, v232, v[2:3]
	v_mov_b32_e32 v1, v2
	v_lshl_add_u64 v[2:3], v[14:15], 4, v[12:13]
	v_mul_f64 v[8:9], v[8:9], s[0:1]
	v_lshl_add_u64 v[12:13], v[0:1], 4, v[2:3]
	s_waitcnt lgkmcnt(0)
	v_mul_f64 v[0:1], v[66:67], v[6:7]
	v_mul_f64 v[2:3], v[66:67], v[4:5]
	v_mov_b32_e32 v14, 0x220
	global_store_dwordx4 v[12:13], v[8:11], off
	v_fmac_f64_e32 v[0:1], v[64:65], v[4:5]
	v_fma_f64 v[2:3], v[64:65], v[6:7], -v[2:3]
	v_mad_u64_u32 v[12:13], s[2:3], s4, v14, v[12:13]
	ds_read_b128 v[4:7], v235 offset:1088
	s_mul_i32 s2, s5, 0x220
	v_mul_f64 v[0:1], v[0:1], s[0:1]
	v_mul_f64 v[2:3], v[2:3], s[0:1]
	v_add_u32_e32 v13, s2, v13
	global_store_dwordx4 v[12:13], v[0:3], off
	ds_read_b128 v[0:3], v235 offset:1632
	s_waitcnt lgkmcnt(1)
	v_mul_f64 v[8:9], v[62:63], v[6:7]
	v_fmac_f64_e32 v[8:9], v[60:61], v[4:5]
	v_mul_f64 v[4:5], v[62:63], v[4:5]
	v_fma_f64 v[4:5], v[60:61], v[6:7], -v[4:5]
	v_mul_f64 v[10:11], v[4:5], s[0:1]
	s_waitcnt lgkmcnt(0)
	v_mul_f64 v[4:5], v[58:59], v[2:3]
	v_fmac_f64_e32 v[4:5], v[56:57], v[0:1]
	v_mul_f64 v[0:1], v[58:59], v[0:1]
	v_fma_f64 v[0:1], v[56:57], v[2:3], -v[0:1]
	v_mul_f64 v[6:7], v[0:1], s[0:1]
	ds_read_b128 v[0:3], v235 offset:2176
	v_mad_u64_u32 v[12:13], s[6:7], s4, v14, v[12:13]
	v_mul_f64 v[8:9], v[8:9], s[0:1]
	v_add_u32_e32 v13, s2, v13
	global_store_dwordx4 v[12:13], v[8:11], off
	v_mad_u64_u32 v[12:13], s[6:7], s4, v14, v[12:13]
	v_accvgpr_read_b32 v16, a52
	v_mul_f64 v[4:5], v[4:5], s[0:1]
	v_add_u32_e32 v13, s2, v13
	v_accvgpr_read_b32 v18, a54
	v_accvgpr_read_b32 v19, a55
	global_store_dwordx4 v[12:13], v[4:7], off
	ds_read_b128 v[4:7], v235 offset:2720
	v_accvgpr_read_b32 v17, a53
	s_waitcnt lgkmcnt(1)
	v_mul_f64 v[8:9], v[18:19], v[2:3]
	v_fmac_f64_e32 v[8:9], v[16:17], v[0:1]
	v_mul_f64 v[0:1], v[18:19], v[0:1]
	v_fma_f64 v[0:1], v[16:17], v[2:3], -v[0:1]
	v_mad_u64_u32 v[12:13], s[6:7], s4, v14, v[12:13]
	v_mul_f64 v[8:9], v[8:9], s[0:1]
	v_mul_f64 v[10:11], v[0:1], s[0:1]
	v_add_u32_e32 v13, s2, v13
	global_store_dwordx4 v[12:13], v[8:11], off
	v_mad_u64_u32 v[12:13], s[6:7], s4, v14, v[12:13]
	s_nop 0
	v_accvgpr_read_b32 v8, a48
	v_accvgpr_read_b32 v10, a50
	;; [unrolled: 1-line block ×4, first 2 shown]
	s_waitcnt lgkmcnt(0)
	v_mul_f64 v[0:1], v[10:11], v[6:7]
	v_mul_f64 v[2:3], v[10:11], v[4:5]
	v_fmac_f64_e32 v[0:1], v[8:9], v[4:5]
	v_fma_f64 v[2:3], v[8:9], v[6:7], -v[2:3]
	ds_read_b128 v[4:7], v235 offset:3264
	v_accvgpr_read_b32 v16, a32
	v_mul_f64 v[0:1], v[0:1], s[0:1]
	v_mul_f64 v[2:3], v[2:3], s[0:1]
	v_add_u32_e32 v13, s2, v13
	v_accvgpr_read_b32 v18, a34
	v_accvgpr_read_b32 v19, a35
	global_store_dwordx4 v[12:13], v[0:3], off
	ds_read_b128 v[0:3], v235 offset:3808
	v_accvgpr_read_b32 v17, a33
	s_waitcnt lgkmcnt(1)
	v_mul_f64 v[8:9], v[18:19], v[6:7]
	v_fmac_f64_e32 v[8:9], v[16:17], v[4:5]
	v_mul_f64 v[4:5], v[18:19], v[4:5]
	v_fma_f64 v[4:5], v[16:17], v[6:7], -v[4:5]
	v_mad_u64_u32 v[12:13], s[6:7], s4, v14, v[12:13]
	v_mul_f64 v[8:9], v[8:9], s[0:1]
	v_mul_f64 v[10:11], v[4:5], s[0:1]
	v_add_u32_e32 v13, s2, v13
	global_store_dwordx4 v[12:13], v[8:11], off
	v_accvgpr_read_b32 v6, a12
	v_accvgpr_read_b32 v7, a13
	;; [unrolled: 1-line block ×4, first 2 shown]
	s_waitcnt lgkmcnt(0)
	v_mul_f64 v[4:5], v[8:9], v[2:3]
	v_fmac_f64_e32 v[4:5], v[6:7], v[0:1]
	v_mul_f64 v[0:1], v[8:9], v[0:1]
	v_fma_f64 v[0:1], v[6:7], v[2:3], -v[0:1]
	v_mul_f64 v[6:7], v[0:1], s[0:1]
	ds_read_b128 v[0:3], v235 offset:4352
	v_mad_u64_u32 v[12:13], s[6:7], s4, v14, v[12:13]
	v_accvgpr_read_b32 v19, a7
	v_mul_f64 v[4:5], v[4:5], s[0:1]
	v_add_u32_e32 v13, s2, v13
	v_accvgpr_read_b32 v18, a6
	global_store_dwordx4 v[12:13], v[4:7], off
	ds_read_b128 v[4:7], v235 offset:4896
	v_accvgpr_read_b32 v17, a5
	v_accvgpr_read_b32 v16, a4
	s_waitcnt lgkmcnt(1)
	v_mul_f64 v[8:9], v[18:19], v[2:3]
	v_fmac_f64_e32 v[8:9], v[16:17], v[0:1]
	v_mul_f64 v[0:1], v[18:19], v[0:1]
	v_fma_f64 v[0:1], v[16:17], v[2:3], -v[0:1]
	v_mad_u64_u32 v[12:13], s[6:7], s4, v14, v[12:13]
	v_mul_f64 v[8:9], v[8:9], s[0:1]
	v_mul_f64 v[10:11], v[0:1], s[0:1]
	v_add_u32_e32 v13, s2, v13
	global_store_dwordx4 v[12:13], v[8:11], off
	v_mad_u64_u32 v[12:13], s[6:7], s4, v14, v[12:13]
	s_nop 0
	v_accvgpr_read_b32 v8, a8
	v_accvgpr_read_b32 v10, a10
	;; [unrolled: 1-line block ×4, first 2 shown]
	s_waitcnt lgkmcnt(0)
	v_mul_f64 v[0:1], v[10:11], v[6:7]
	v_mul_f64 v[2:3], v[10:11], v[4:5]
	v_fmac_f64_e32 v[0:1], v[8:9], v[4:5]
	v_fma_f64 v[2:3], v[8:9], v[6:7], -v[2:3]
	ds_read_b128 v[4:7], v235 offset:5440
	v_accvgpr_read_b32 v16, a44
	v_mul_f64 v[0:1], v[0:1], s[0:1]
	v_mul_f64 v[2:3], v[2:3], s[0:1]
	v_add_u32_e32 v13, s2, v13
	v_accvgpr_read_b32 v18, a46
	v_accvgpr_read_b32 v19, a47
	global_store_dwordx4 v[12:13], v[0:3], off
	ds_read_b128 v[0:3], v235 offset:5984
	v_accvgpr_read_b32 v17, a45
	s_waitcnt lgkmcnt(1)
	v_mul_f64 v[8:9], v[18:19], v[6:7]
	v_fmac_f64_e32 v[8:9], v[16:17], v[4:5]
	v_mul_f64 v[4:5], v[18:19], v[4:5]
	v_fma_f64 v[4:5], v[16:17], v[6:7], -v[4:5]
	v_mad_u64_u32 v[12:13], s[6:7], s4, v14, v[12:13]
	v_mul_f64 v[8:9], v[8:9], s[0:1]
	v_mul_f64 v[10:11], v[4:5], s[0:1]
	v_add_u32_e32 v13, s2, v13
	global_store_dwordx4 v[12:13], v[8:11], off
	v_accvgpr_read_b32 v6, a24
	v_accvgpr_read_b32 v7, a25
	;; [unrolled: 1-line block ×4, first 2 shown]
	s_waitcnt lgkmcnt(0)
	v_mul_f64 v[4:5], v[8:9], v[2:3]
	v_fmac_f64_e32 v[4:5], v[6:7], v[0:1]
	v_mul_f64 v[0:1], v[8:9], v[0:1]
	v_fma_f64 v[0:1], v[6:7], v[2:3], -v[0:1]
	v_mul_f64 v[6:7], v[0:1], s[0:1]
	ds_read_b128 v[0:3], v235 offset:6528
	v_mad_u64_u32 v[12:13], s[6:7], s4, v14, v[12:13]
	v_accvgpr_read_b32 v16, a40
	v_mul_f64 v[4:5], v[4:5], s[0:1]
	v_add_u32_e32 v13, s2, v13
	v_accvgpr_read_b32 v18, a42
	v_accvgpr_read_b32 v19, a43
	global_store_dwordx4 v[12:13], v[4:7], off
	ds_read_b128 v[4:7], v235 offset:7072
	v_accvgpr_read_b32 v17, a41
	s_waitcnt lgkmcnt(1)
	v_mul_f64 v[8:9], v[18:19], v[2:3]
	v_fmac_f64_e32 v[8:9], v[16:17], v[0:1]
	v_mul_f64 v[0:1], v[18:19], v[0:1]
	v_fma_f64 v[0:1], v[16:17], v[2:3], -v[0:1]
	v_mad_u64_u32 v[12:13], s[6:7], s4, v14, v[12:13]
	v_mul_f64 v[8:9], v[8:9], s[0:1]
	v_mul_f64 v[10:11], v[0:1], s[0:1]
	v_add_u32_e32 v13, s2, v13
	global_store_dwordx4 v[12:13], v[8:11], off
	v_mad_u64_u32 v[12:13], s[6:7], s4, v14, v[12:13]
	s_nop 0
	v_accvgpr_read_b32 v8, a20
	v_accvgpr_read_b32 v10, a22
	v_accvgpr_read_b32 v11, a23
	v_accvgpr_read_b32 v9, a21
	s_waitcnt lgkmcnt(0)
	v_mul_f64 v[0:1], v[10:11], v[6:7]
	v_mul_f64 v[2:3], v[10:11], v[4:5]
	v_fmac_f64_e32 v[0:1], v[8:9], v[4:5]
	v_fma_f64 v[2:3], v[8:9], v[6:7], -v[2:3]
	ds_read_b128 v[4:7], v235 offset:7616
	v_accvgpr_read_b32 v16, a36
	v_mul_f64 v[0:1], v[0:1], s[0:1]
	v_mul_f64 v[2:3], v[2:3], s[0:1]
	v_add_u32_e32 v13, s2, v13
	v_accvgpr_read_b32 v18, a38
	v_accvgpr_read_b32 v19, a39
	global_store_dwordx4 v[12:13], v[0:3], off
	ds_read_b128 v[0:3], v235 offset:8160
	v_accvgpr_read_b32 v17, a37
	s_waitcnt lgkmcnt(1)
	v_mul_f64 v[8:9], v[18:19], v[6:7]
	v_fmac_f64_e32 v[8:9], v[16:17], v[4:5]
	v_mul_f64 v[4:5], v[18:19], v[4:5]
	v_fma_f64 v[4:5], v[16:17], v[6:7], -v[4:5]
	v_mad_u64_u32 v[12:13], s[6:7], s4, v14, v[12:13]
	v_mul_f64 v[8:9], v[8:9], s[0:1]
	v_mul_f64 v[10:11], v[4:5], s[0:1]
	v_add_u32_e32 v13, s2, v13
	global_store_dwordx4 v[12:13], v[8:11], off
	v_accvgpr_read_b32 v6, a16
	v_accvgpr_read_b32 v7, a17
	;; [unrolled: 1-line block ×4, first 2 shown]
	s_waitcnt lgkmcnt(0)
	v_mul_f64 v[4:5], v[8:9], v[2:3]
	v_fmac_f64_e32 v[4:5], v[6:7], v[0:1]
	v_mul_f64 v[0:1], v[8:9], v[0:1]
	v_fma_f64 v[0:1], v[6:7], v[2:3], -v[0:1]
	v_mul_f64 v[6:7], v[0:1], s[0:1]
	ds_read_b128 v[0:3], v235 offset:8704
	v_mad_u64_u32 v[8:9], s[6:7], s4, v14, v[12:13]
	v_accvgpr_read_b32 v10, a28
	v_mul_f64 v[4:5], v[4:5], s[0:1]
	v_add_u32_e32 v9, s2, v9
	v_accvgpr_read_b32 v12, a30
	v_accvgpr_read_b32 v13, a31
	global_store_dwordx4 v[8:9], v[4:7], off
	v_accvgpr_read_b32 v11, a29
	s_waitcnt lgkmcnt(0)
	v_mul_f64 v[4:5], v[12:13], v[2:3]
	v_fmac_f64_e32 v[4:5], v[10:11], v[0:1]
	v_mul_f64 v[0:1], v[12:13], v[0:1]
	v_fma_f64 v[0:1], v[10:11], v[2:3], -v[0:1]
	v_mul_f64 v[4:5], v[4:5], s[0:1]
	v_mul_f64 v[6:7], v[0:1], s[0:1]
	v_mad_u64_u32 v[0:1], s[0:1], s4, v14, v[8:9]
	v_add_u32_e32 v1, s2, v1
	global_store_dwordx4 v[0:1], v[4:7], off
.LBB0_10:
	s_endpgm
	.section	.rodata,"a",@progbits
	.p2align	6, 0x0
	.amdhsa_kernel bluestein_single_back_len578_dim1_dp_op_CI_CI
		.amdhsa_group_segment_fixed_size 64736
		.amdhsa_private_segment_fixed_size 0
		.amdhsa_kernarg_size 104
		.amdhsa_user_sgpr_count 2
		.amdhsa_user_sgpr_dispatch_ptr 0
		.amdhsa_user_sgpr_queue_ptr 0
		.amdhsa_user_sgpr_kernarg_segment_ptr 1
		.amdhsa_user_sgpr_dispatch_id 0
		.amdhsa_user_sgpr_kernarg_preload_length 0
		.amdhsa_user_sgpr_kernarg_preload_offset 0
		.amdhsa_user_sgpr_private_segment_size 0
		.amdhsa_uses_dynamic_stack 0
		.amdhsa_enable_private_segment 0
		.amdhsa_system_sgpr_workgroup_id_x 1
		.amdhsa_system_sgpr_workgroup_id_y 0
		.amdhsa_system_sgpr_workgroup_id_z 0
		.amdhsa_system_sgpr_workgroup_info 0
		.amdhsa_system_vgpr_workitem_id 0
		.amdhsa_next_free_vgpr 312
		.amdhsa_next_free_sgpr 62
		.amdhsa_accum_offset 256
		.amdhsa_reserve_vcc 1
		.amdhsa_float_round_mode_32 0
		.amdhsa_float_round_mode_16_64 0
		.amdhsa_float_denorm_mode_32 3
		.amdhsa_float_denorm_mode_16_64 3
		.amdhsa_dx10_clamp 1
		.amdhsa_ieee_mode 1
		.amdhsa_fp16_overflow 0
		.amdhsa_tg_split 0
		.amdhsa_exception_fp_ieee_invalid_op 0
		.amdhsa_exception_fp_denorm_src 0
		.amdhsa_exception_fp_ieee_div_zero 0
		.amdhsa_exception_fp_ieee_overflow 0
		.amdhsa_exception_fp_ieee_underflow 0
		.amdhsa_exception_fp_ieee_inexact 0
		.amdhsa_exception_int_div_zero 0
	.end_amdhsa_kernel
	.text
.Lfunc_end0:
	.size	bluestein_single_back_len578_dim1_dp_op_CI_CI, .Lfunc_end0-bluestein_single_back_len578_dim1_dp_op_CI_CI
                                        ; -- End function
	.section	.AMDGPU.csdata,"",@progbits
; Kernel info:
; codeLenInByte = 31468
; NumSgprs: 68
; NumVgprs: 256
; NumAgprs: 56
; TotalNumVgprs: 312
; ScratchSize: 0
; MemoryBound: 0
; FloatMode: 240
; IeeeMode: 1
; LDSByteSize: 64736 bytes/workgroup (compile time only)
; SGPRBlocks: 8
; VGPRBlocks: 38
; NumSGPRsForWavesPerEU: 68
; NumVGPRsForWavesPerEU: 312
; AccumOffset: 256
; Occupancy: 1
; WaveLimiterHint : 1
; COMPUTE_PGM_RSRC2:SCRATCH_EN: 0
; COMPUTE_PGM_RSRC2:USER_SGPR: 2
; COMPUTE_PGM_RSRC2:TRAP_HANDLER: 0
; COMPUTE_PGM_RSRC2:TGID_X_EN: 1
; COMPUTE_PGM_RSRC2:TGID_Y_EN: 0
; COMPUTE_PGM_RSRC2:TGID_Z_EN: 0
; COMPUTE_PGM_RSRC2:TIDIG_COMP_CNT: 0
; COMPUTE_PGM_RSRC3_GFX90A:ACCUM_OFFSET: 63
; COMPUTE_PGM_RSRC3_GFX90A:TG_SPLIT: 0
	.text
	.p2alignl 6, 3212836864
	.fill 256, 4, 3212836864
	.type	__hip_cuid_8ad87a8e86e0ea86,@object ; @__hip_cuid_8ad87a8e86e0ea86
	.section	.bss,"aw",@nobits
	.globl	__hip_cuid_8ad87a8e86e0ea86
__hip_cuid_8ad87a8e86e0ea86:
	.byte	0                               ; 0x0
	.size	__hip_cuid_8ad87a8e86e0ea86, 1

	.ident	"AMD clang version 19.0.0git (https://github.com/RadeonOpenCompute/llvm-project roc-6.4.0 25133 c7fe45cf4b819c5991fe208aaa96edf142730f1d)"
	.section	".note.GNU-stack","",@progbits
	.addrsig
	.addrsig_sym __hip_cuid_8ad87a8e86e0ea86
	.amdgpu_metadata
---
amdhsa.kernels:
  - .agpr_count:     56
    .args:
      - .actual_access:  read_only
        .address_space:  global
        .offset:         0
        .size:           8
        .value_kind:     global_buffer
      - .actual_access:  read_only
        .address_space:  global
        .offset:         8
        .size:           8
        .value_kind:     global_buffer
      - .actual_access:  read_only
        .address_space:  global
        .offset:         16
        .size:           8
        .value_kind:     global_buffer
      - .actual_access:  read_only
        .address_space:  global
        .offset:         24
        .size:           8
        .value_kind:     global_buffer
      - .actual_access:  read_only
        .address_space:  global
        .offset:         32
        .size:           8
        .value_kind:     global_buffer
      - .offset:         40
        .size:           8
        .value_kind:     by_value
      - .address_space:  global
        .offset:         48
        .size:           8
        .value_kind:     global_buffer
      - .address_space:  global
        .offset:         56
        .size:           8
        .value_kind:     global_buffer
      - .address_space:  global
        .offset:         64
        .size:           8
        .value_kind:     global_buffer
      - .address_space:  global
        .offset:         72
        .size:           8
        .value_kind:     global_buffer
      - .offset:         80
        .size:           4
        .value_kind:     by_value
      - .address_space:  global
        .offset:         88
        .size:           8
        .value_kind:     global_buffer
      - .address_space:  global
        .offset:         96
        .size:           8
        .value_kind:     global_buffer
    .group_segment_fixed_size: 64736
    .kernarg_segment_align: 8
    .kernarg_segment_size: 104
    .language:       OpenCL C
    .language_version:
      - 2
      - 0
    .max_flat_workgroup_size: 238
    .name:           bluestein_single_back_len578_dim1_dp_op_CI_CI
    .private_segment_fixed_size: 0
    .sgpr_count:     68
    .sgpr_spill_count: 0
    .symbol:         bluestein_single_back_len578_dim1_dp_op_CI_CI.kd
    .uniform_work_group_size: 1
    .uses_dynamic_stack: false
    .vgpr_count:     312
    .vgpr_spill_count: 0
    .wavefront_size: 64
amdhsa.target:   amdgcn-amd-amdhsa--gfx950
amdhsa.version:
  - 1
  - 2
...

	.end_amdgpu_metadata
